;; amdgpu-corpus repo=ROCm/aiter kind=harvested arch=n/a opt=n/a

/root/src/amdgpu-assembly/repos/ROCm__aiter/hsa/gfx950/pa/pa_bf16_pertokenFp8_gqa16_1tg_4w_qlen48_msk1_ps.co:	file format elf64-amdgpu

Disassembly of section .text:

0000000000002800 <_ZN5aiter42PA_A16W8_BLK1024_1TG_4W_48mx1_64nx4_MTP_PSE>:
	s_and_b32 s1, s1, 0xffff                                   // 000000002800: 8601FF01 0000FFFF
	s_load_dwordx2 s[4:5], s[0:1], 0x0                         // 000000002808: C0060100 00000000
	s_load_dwordx2 s[8:9], s[0:1], 0x10                        // 000000002810: C0060200 00000010
	s_load_dwordx2 s[12:13], s[0:1], 0x20                      // 000000002818: C0060300 00000020
	s_load_dwordx2 s[16:17], s[0:1], 0x30                      // 000000002820: C0060400 00000030
	s_load_dwordx2 s[42:43], s[0:1], 0x40                      // 000000002828: C0060A80 00000040
	s_load_dwordx2 s[40:41], s[0:1], 0x50                      // 000000002830: C0060A00 00000050
	s_load_dwordx2 s[20:21], s[0:1], 0x60                      // 000000002838: C0060500 00000060
	s_load_dwordx2 s[24:25], s[0:1], 0x70                      // 000000002840: C0060600 00000070
	s_load_dword s46, s[0:1], 0x80                             // 000000002848: C0020B80 00000080
	s_load_dword s48, s[0:1], 0x90                             // 000000002850: C0020C00 00000090
	s_load_dword s49, s[0:1], 0xa0                             // 000000002858: C0020C40 000000A0
	s_load_dword s50, s[0:1], 0xb0                             // 000000002860: C0020C80 000000B0
	s_load_dword s51, s[0:1], 0xc0                             // 000000002868: C0020CC0 000000C0
	s_load_dword s52, s[0:1], 0xd0                             // 000000002870: C0020D00 000000D0
	s_load_dword s53, s[0:1], 0xe0                             // 000000002878: C0020D40 000000E0
	s_load_dwordx2 s[44:45], s[0:1], 0x100                     // 000000002880: C0060B00 00000100
	s_load_dwordx2 s[36:37], s[0:1], 0x110                     // 000000002888: C0060900 00000110
	s_load_dwordx2 s[38:39], s[0:1], 0x120                     // 000000002890: C0060980 00000120
	s_load_dwordx2 s[28:29], s[0:1], 0x130                     // 000000002898: C0060700 00000130
	s_load_dwordx2 s[32:33], s[0:1], 0x140                     // 0000000028A0: C0060800 00000140
	s_load_dword s100, s[0:1], 0x150                           // 0000000028A8: C0021900 00000150
	s_load_dword s66, s[0:1], 0x160                            // 0000000028B0: C0021080 00000160
	v_lshrrev_b32_e32 v1, 10, v0                               // 0000000028B8: 2002008A
	v_lshrrev_b32_e32 v2, 10, v1                               // 0000000028BC: 2004028A
	v_and_b32_e32 v2, 0x3ff, v2                                // 0000000028C0: 260404FF 000003FF
	v_and_b32_e32 v1, 0x3ff, v1                                // 0000000028C8: 260202FF 000003FF
	v_and_b32_e32 v0, 0x3ff, v0                                // 0000000028D0: 260000FF 000003FF
	v_lshrrev_b32_e32 v3, 6, v0                                // 0000000028D8: 20060086
	v_and_b32_e32 v0, 63, v0                                   // 0000000028DC: 260000BF
	s_mov_b32 s58, s2                                          // 0000000028E0: BEBA0002
	v_readfirstlane_b32 s57, v3                                // 0000000028E4: 7E720503
	s_mov_b32 s56, 0x7060302                                   // 0000000028E8: BEB800FF 07060302
	v_mov_b32_e32 v215, 0xffff0000                             // 0000000028F0: 7FAE02FF FFFF0000
	v_mov_b32_e32 v216, 0x7fff0000                             // 0000000028F8: 7FB002FF 7FFF0000
	v_mov_b32_e32 v217, 0x7fff                                 // 000000002900: 7FB202FF 00007FFF
	v_mov_b32_e32 v222, 0xff800000                             // 000000002908: 7FBC02FF FF800000
	v_lshrrev_b32_e32 v204, 4, v0                              // 000000002910: 21980084
	v_and_b32_e32 v205, 15, v0                                 // 000000002914: 279A008F
	v_add_u32_e32 v206, 1, v204                                // 000000002918: 699D9881
	v_and_b32_e32 v208, 3, v206                                // 00000000291C: 27A19C83
	v_lshlrev_b32_e32 v208, 4, v208                            // 000000002920: 25A1A084
	v_add_u32_e32 v208, v205, v208                             // 000000002924: 69A1A1CD
	v_lshlrev_b32_e32 v208, 2, v208                            // 000000002928: 25A1A082
	v_add_u32_e32 v206, 2, v204                                // 00000000292C: 699D9882
	v_and_b32_e32 v209, 3, v206                                // 000000002930: 27A39C83
	v_lshlrev_b32_e32 v209, 4, v209                            // 000000002934: 25A3A284
	v_add_u32_e32 v209, v205, v209                             // 000000002938: 69A3A3CD
	v_lshlrev_b32_e32 v209, 2, v209                            // 00000000293C: 25A3A282
	v_add_u32_e32 v206, 3, v204                                // 000000002940: 699D9883
	v_and_b32_e32 v210, 3, v206                                // 000000002944: 27A59C83
	v_lshlrev_b32_e32 v210, 4, v210                            // 000000002948: 25A5A484
	v_add_u32_e32 v210, v205, v210                             // 00000000294C: 69A5A5CD
	v_lshlrev_b32_e32 v210, 2, v210                            // 000000002950: 25A5A482
	s_waitcnt lgkmcnt(0)                                       // 000000002954: BF8CC07F
	s_lshl_b32 s54, s58, 2                                     // 000000002958: 8E36823A
	s_and_b32 s37, s37, 0xffff                                 // 00000000295C: 8625FF25 0000FFFF
	s_load_dwordx2 s[80:81], s[36:37], s54                     // 000000002964: C0041412 00000036
	s_mul_i32 s54, s53, 0x100                                  // 00000000296C: 9236FF35 00000100
	s_mul_i32 s67, s48, s54                                    // 000000002974: 92433630
	s_mov_b32 s47, s46                                         // 000000002978: BEAF002E
	s_mov_b32 s10, 0x80000000                                  // 00000000297C: BE8A00FF 80000000
	s_mov_b32 s11, 0x20000                                     // 000000002984: BE8B00FF 00020000
	s_and_b32 s9, s9, 0xffff                                   // 00000000298C: 8609FF09 0000FFFF
	s_or_b32 s9, s9, 0                                         // 000000002994: 87098009
	s_mov_b32 s84, s8                                          // 000000002998: BED40008
	s_mov_b32 s85, s9                                          // 00000000299C: BED50009
	s_mov_b32 s6, 0x80000000                                   // 0000000029A0: BE8600FF 80000000
	s_mov_b32 s7, 0x20000                                      // 0000000029A8: BE8700FF 00020000
	s_and_b32 s5, s5, 0xffff                                   // 0000000029B0: 8605FF05 0000FFFF
	s_or_b32 s5, s5, 0                                         // 0000000029B8: 87058005
	s_mov_b32 s82, s4                                          // 0000000029BC: BED20004
	s_mov_b32 s83, s5                                          // 0000000029C0: BED30005
	s_mov_b32 s30, 0x80000000                                  // 0000000029C4: BE9E00FF 80000000
	s_mov_b32 s31, 0x20000                                     // 0000000029CC: BE9F00FF 00020000
	s_and_b32 s29, s29, 0xffff                                 // 0000000029D4: 861DFF1D 0000FFFF
	s_or_b32 s29, s29, 0                                       // 0000000029DC: 871D801D
	s_mov_b32 s94, s28                                         // 0000000029E0: BEDE001C
	s_mov_b32 s95, s29                                         // 0000000029E4: BEDF001D
	s_mov_b32 s34, 0x80000000                                  // 0000000029E8: BEA200FF 80000000
	s_mov_b32 s35, 0x20000                                     // 0000000029F0: BEA300FF 00020000
	s_and_b32 s33, s33, 0xffff                                 // 0000000029F8: 8621FF21 0000FFFF
	s_or_b32 s33, s33, 0                                       // 000000002A00: 87218021
	s_mov_b32 s96, s32                                         // 000000002A04: BEE00020
	s_mov_b32 s97, s33                                         // 000000002A08: BEE10021
	s_mov_b32 s14, 0x80000000                                  // 000000002A0C: BE8E00FF 80000000
	s_mov_b32 s15, 0x20000                                     // 000000002A14: BE8F00FF 00020000
	s_and_b32 s13, s13, 0xffff                                 // 000000002A1C: 860DFF0D 0000FFFF
	s_or_b32 s13, s13, 0                                       // 000000002A24: 870D800D
	s_mul_i32 s55, s57, 0x100                                  // 000000002A28: 9237FF39 00000100
	s_add_u32 s86, s12, s55                                    // 000000002A30: 8056370C
	s_addc_u32 s87, s13, 0                                     // 000000002A34: 8257800D
	s_mov_b32 s18, 0x80000000                                  // 000000002A38: BE9200FF 80000000
	s_mov_b32 s19, 0x20000                                     // 000000002A40: BE9300FF 00020000
	s_and_b32 s17, s17, 0xffff                                 // 000000002A48: 8611FF11 0000FFFF
	s_or_b32 s17, s17, 0                                       // 000000002A50: 87118011
	s_add_u32 s88, s16, s55                                    // 000000002A54: 80583710
	s_addc_u32 s89, s17, 0                                     // 000000002A58: 82598011
	s_mov_b32 s22, 0x80000000                                  // 000000002A5C: BE9600FF 80000000
	s_mov_b32 s23, 0x20000                                     // 000000002A64: BE9700FF 00020000
	s_and_b32 s21, s21, 0xffff                                 // 000000002A6C: 8615FF15 0000FFFF
	s_or_b32 s21, s21, 0                                       // 000000002A74: 87158015
	s_mul_i32 s55, s57, 64                                     // 000000002A78: 9237C039
	s_add_u32 s90, s20, s55                                    // 000000002A7C: 805A3714
	s_addc_u32 s91, s21, 0                                     // 000000002A80: 825B8015
	s_mov_b32 s26, 0x80000000                                  // 000000002A84: BE9A00FF 80000000
	s_mov_b32 s27, 0x20000                                     // 000000002A8C: BE9B00FF 00020000
	s_and_b32 s25, s25, 0xffff                                 // 000000002A94: 8619FF19 0000FFFF
	s_or_b32 s25, s25, 0                                       // 000000002A9C: 87198019
	s_add_u32 s92, s24, s55                                    // 000000002AA0: 805C3718
	s_addc_u32 s93, s25, 0                                     // 000000002AA4: 825D8019
	s_and_b32 s39, s39, 0xffff                                 // 000000002AA8: 8627FF27 0000FFFF
	s_and_b32 s41, s41, 0xffff                                 // 000000002AB0: 8629FF29 0000FFFF
	s_and_b32 s43, s43, 0xffff                                 // 000000002AB8: 862BFF2B 0000FFFF
	s_and_b32 s45, s45, 0xffff                                 // 000000002AC0: 862DFF2D 0000FFFF
	v_and_b32_e32 v196, 15, v0                                 // 000000002AC8: 2788008F
	v_lshlrev_b32_e32 v196, 4, v196                            // 000000002ACC: 25898884
	s_lshl_b32 s54, s57, 2                                     // 000000002AD0: 8E368239
	v_lshrrev_b32_e32 v188, 4, v0                              // 000000002AD4: 21780084
	v_add_u32_e32 v188, s54, v188                              // 000000002AD8: 69797836
	v_add_u32_e32 v189, 16, v188                               // 000000002ADC: 697B7890
	v_add_u32_e32 v190, 16, v189                               // 000000002AE0: 697D7A90
	v_cvt_f32_u32_e32 v204, s53                                // 000000002AE4: 7F980C35
	v_sub_i32 v192, 0, s53                                     // 000000002AE8: D29D00C0 00006A80
	v_rcp_iflag_f32_e32 v204, v204                             // 000000002AF0: 7F9847CC
	s_nop 0                                                    // 000000002AF4: BF800000
	v_mul_f32_e32 v204, 0x4f7ffffe, v204                       // 000000002AF8: 0B9998FF 4F7FFFFE
	v_cvt_u32_f32_e32 v204, v204                               // 000000002B00: 7F980FCC
	v_mul_lo_u32 v205, v192, v204                              // 000000002B04: D28500CD 000399C0
	v_mul_hi_u32 v205, v204, v205                              // 000000002B0C: D28600CD 00039BCC
	v_add_u32_e32 v204, v204, v205                             // 000000002B14: 69999BCC
	v_mul_hi_u32 v204, v188, v204                              // 000000002B18: D28600CC 000399BC
	v_mul_lo_u32 v205, v204, s53                               // 000000002B20: D28500CD 00006BCC
	v_sub_u32_e32 v207, v188, v205                             // 000000002B28: 6B9F9BBC
	v_add_u32_e32 v206, 1, v204                                // 000000002B2C: 699D9881
	v_cmp_le_u32_e32 vcc, s53, v207                            // 000000002B30: 7D979E35
	v_subrev_u32_e32 v205, s53, v207                           // 000000002B34: 6D9B9E35
	s_nop 0                                                    // 000000002B38: BF800000
	v_cndmask_b32_e32 v204, v204, v206, vcc                    // 000000002B3C: 01999DCC
	v_cndmask_b32_e32 v207, v207, v205, vcc                    // 000000002B40: 019F9BCF
	v_add_u32_e32 v205, 1, v204                                // 000000002B44: 699B9881
	v_cmp_le_u32_e32 vcc, s53, v207                            // 000000002B48: 7D979E35
	s_nop 1                                                    // 000000002B4C: BF800001
	v_cndmask_b32_e32 v192, v204, v205, vcc                    // 000000002B50: 01819BCC
	v_mul_i32_i24_e32 v206, s53, v192                          // 000000002B54: 0D9D8035
	v_sub_u32_e32 v206, v188, v206                             // 000000002B58: 6B9D9DBC
	v_mul_u32_u24_e32 v206, 0x100, v206                        // 000000002B5C: 119D9CFF 00000100
	v_mul_u32_u24_e32 v223, s49, v192                          // 000000002B64: 11BF8031
	v_add3_u32 v223, v206, v223, v196                          // 000000002B68: D1FF00DF 0713BFCE
	v_mul_u32_u24_e32 v226, s67, v192                          // 000000002B70: 11C58043
	v_add3_u32 v226, v206, v226, v196                          // 000000002B74: D1FF00E2 0713C5CE
	v_cvt_f32_u32_e32 v204, s53                                // 000000002B7C: 7F980C35
	v_sub_i32 v192, 0, s53                                     // 000000002B80: D29D00C0 00006A80
	v_rcp_iflag_f32_e32 v204, v204                             // 000000002B88: 7F9847CC
	s_nop 0                                                    // 000000002B8C: BF800000
	v_mul_f32_e32 v204, 0x4f7ffffe, v204                       // 000000002B90: 0B9998FF 4F7FFFFE
	v_cvt_u32_f32_e32 v204, v204                               // 000000002B98: 7F980FCC
	v_mul_lo_u32 v205, v192, v204                              // 000000002B9C: D28500CD 000399C0
	v_mul_hi_u32 v205, v204, v205                              // 000000002BA4: D28600CD 00039BCC
	v_add_u32_e32 v204, v204, v205                             // 000000002BAC: 69999BCC
	v_mul_hi_u32 v204, v189, v204                              // 000000002BB0: D28600CC 000399BD
	v_mul_lo_u32 v205, v204, s53                               // 000000002BB8: D28500CD 00006BCC
	v_sub_u32_e32 v207, v189, v205                             // 000000002BC0: 6B9F9BBD
	v_add_u32_e32 v206, 1, v204                                // 000000002BC4: 699D9881
	v_cmp_le_u32_e32 vcc, s53, v207                            // 000000002BC8: 7D979E35
	v_subrev_u32_e32 v205, s53, v207                           // 000000002BCC: 6D9B9E35
	s_nop 0                                                    // 000000002BD0: BF800000
	v_cndmask_b32_e32 v204, v204, v206, vcc                    // 000000002BD4: 01999DCC
	v_cndmask_b32_e32 v207, v207, v205, vcc                    // 000000002BD8: 019F9BCF
	v_add_u32_e32 v205, 1, v204                                // 000000002BDC: 699B9881
	v_cmp_le_u32_e32 vcc, s53, v207                            // 000000002BE0: 7D979E35
	s_nop 1                                                    // 000000002BE4: BF800001
	v_cndmask_b32_e32 v192, v204, v205, vcc                    // 000000002BE8: 01819BCC
	v_mul_i32_i24_e32 v206, s53, v192                          // 000000002BEC: 0D9D8035
	v_sub_u32_e32 v206, v189, v206                             // 000000002BF0: 6B9D9DBD
	v_mul_u32_u24_e32 v206, 0x100, v206                        // 000000002BF4: 119D9CFF 00000100
	v_mul_u32_u24_e32 v224, s49, v192                          // 000000002BFC: 11C18031
	v_add3_u32 v224, v206, v224, v196                          // 000000002C00: D1FF00E0 0713C1CE
	v_mul_u32_u24_e32 v227, s67, v192                          // 000000002C08: 11C78043
	v_add3_u32 v227, v206, v227, v196                          // 000000002C0C: D1FF00E3 0713C7CE
	v_cvt_f32_u32_e32 v204, s53                                // 000000002C14: 7F980C35
	v_sub_i32 v192, 0, s53                                     // 000000002C18: D29D00C0 00006A80
	v_rcp_iflag_f32_e32 v204, v204                             // 000000002C20: 7F9847CC
	s_nop 0                                                    // 000000002C24: BF800000
	v_mul_f32_e32 v204, 0x4f7ffffe, v204                       // 000000002C28: 0B9998FF 4F7FFFFE
	v_cvt_u32_f32_e32 v204, v204                               // 000000002C30: 7F980FCC
	v_mul_lo_u32 v205, v192, v204                              // 000000002C34: D28500CD 000399C0
	v_mul_hi_u32 v205, v204, v205                              // 000000002C3C: D28600CD 00039BCC
	v_add_u32_e32 v204, v204, v205                             // 000000002C44: 69999BCC
	v_mul_hi_u32 v204, v190, v204                              // 000000002C48: D28600CC 000399BE
	v_mul_lo_u32 v205, v204, s53                               // 000000002C50: D28500CD 00006BCC
	v_sub_u32_e32 v207, v190, v205                             // 000000002C58: 6B9F9BBE
	v_add_u32_e32 v206, 1, v204                                // 000000002C5C: 699D9881
	v_cmp_le_u32_e32 vcc, s53, v207                            // 000000002C60: 7D979E35
	v_subrev_u32_e32 v205, s53, v207                           // 000000002C64: 6D9B9E35
	s_nop 0                                                    // 000000002C68: BF800000
	v_cndmask_b32_e32 v204, v204, v206, vcc                    // 000000002C6C: 01999DCC
	v_cndmask_b32_e32 v207, v207, v205, vcc                    // 000000002C70: 019F9BCF
	v_add_u32_e32 v205, 1, v204                                // 000000002C74: 699B9881
	v_cmp_le_u32_e32 vcc, s53, v207                            // 000000002C78: 7D979E35
	s_nop 1                                                    // 000000002C7C: BF800001
	v_cndmask_b32_e32 v192, v204, v205, vcc                    // 000000002C80: 01819BCC
	v_mul_i32_i24_e32 v206, s53, v192                          // 000000002C84: 0D9D8035
	v_sub_u32_e32 v206, v190, v206                             // 000000002C88: 6B9D9DBE
	v_mul_u32_u24_e32 v206, 0x100, v206                        // 000000002C8C: 119D9CFF 00000100
	v_mul_u32_u24_e32 v225, s49, v192                          // 000000002C94: 11C38031
	v_add3_u32 v225, v206, v225, v196                          // 000000002C98: D1FF00E1 0713C3CE
	v_mul_u32_u24_e32 v228, s67, v192                          // 000000002CA0: 11C98043
	v_add3_u32 v228, v206, v228, v196                          // 000000002CA4: D1FF00E4 0713C9CE
	s_lshl_b32 s54, s57, 6                                     // 000000002CAC: 8E368639
	v_lshrrev_b32_e32 v196, 4, v0                              // 000000002CB0: 21880084
	v_lshlrev_b32_e32 v196, 4, v196                            // 000000002CB4: 25898884
	v_add_u32_e32 v196, s54, v196                              // 000000002CB8: 69898836
	v_and_b32_e32 v188, 15, v0                                 // 000000002CBC: 2778008F
	v_add_u32_e64 v189, v188, 16                               // 000000002CC0: D13400BD 000121BC
	v_add_u32_e64 v190, v188, 32                               // 000000002CC8: D13400BE 000141BC
	s_mul_i32 s54, s48, s53                                    // 000000002CD0: 92363530
	s_lshl_b32 s54, s54, 2                                     // 000000002CD4: 8E368236
	s_mul_i32 s55, s54, 0x80                                   // 000000002CD8: 9237FF36 00000080
	v_cvt_f32_u32_e32 v204, s53                                // 000000002CE0: 7F980C35
	v_sub_i32 v192, 0, s53                                     // 000000002CE4: D29D00C0 00006A80
	v_rcp_iflag_f32_e32 v204, v204                             // 000000002CEC: 7F9847CC
	s_nop 0                                                    // 000000002CF0: BF800000
	v_mul_f32_e32 v204, 0x4f7ffffe, v204                       // 000000002CF4: 0B9998FF 4F7FFFFE
	v_cvt_u32_f32_e32 v204, v204                               // 000000002CFC: 7F980FCC
	v_mul_lo_u32 v205, v192, v204                              // 000000002D00: D28500CD 000399C0
	v_mul_hi_u32 v205, v204, v205                              // 000000002D08: D28600CD 00039BCC
	v_add_u32_e32 v204, v204, v205                             // 000000002D10: 69999BCC
	v_mul_hi_u32 v204, v188, v204                              // 000000002D14: D28600CC 000399BC
	v_mul_lo_u32 v205, v204, s53                               // 000000002D1C: D28500CD 00006BCC
	v_sub_u32_e32 v207, v188, v205                             // 000000002D24: 6B9F9BBC
	v_add_u32_e32 v206, 1, v204                                // 000000002D28: 699D9881
	v_cmp_le_u32_e32 vcc, s53, v207                            // 000000002D2C: 7D979E35
	v_subrev_u32_e32 v205, s53, v207                           // 000000002D30: 6D9B9E35
	s_nop 0                                                    // 000000002D34: BF800000
	v_cndmask_b32_e32 v204, v204, v206, vcc                    // 000000002D38: 01999DCC
	v_cndmask_b32_e32 v207, v207, v205, vcc                    // 000000002D3C: 019F9BCF
	v_add_u32_e32 v205, 1, v204                                // 000000002D40: 699B9881
	v_cmp_le_u32_e32 vcc, s53, v207                            // 000000002D44: 7D979E35
	s_nop 1                                                    // 000000002D48: BF800001
	v_cndmask_b32_e32 v192, v204, v205, vcc                    // 000000002D4C: 01819BCC
	v_mul_i32_i24_e32 v206, s53, v192                          // 000000002D50: 0D9D8035
	v_sub_u32_e32 v206, v188, v206                             // 000000002D54: 6B9D9DBC
	v_lshlrev_b32_e32 v207, 2, v206                            // 000000002D58: 259F9C82
	v_mul_u32_u24_e32 v237, s54, v192                          // 000000002D5C: 11DB8036
	v_add_u32_e32 v237, v207, v237                             // 000000002D60: 69DBDBCF
	v_mul_u32_u24_e32 v207, 0x200, v206                        // 000000002D64: 119F9CFF 00000200
	v_mul_u32_u24_e32 v240, s55, v192                          // 000000002D6C: 11E18037
	v_add3_u32 v240, v207, v240, v196                          // 000000002D70: D1FF00F0 0713E1CF
	v_cvt_f32_u32_e32 v204, s53                                // 000000002D78: 7F980C35
	v_sub_i32 v192, 0, s53                                     // 000000002D7C: D29D00C0 00006A80
	v_rcp_iflag_f32_e32 v204, v204                             // 000000002D84: 7F9847CC
	s_nop 0                                                    // 000000002D88: BF800000
	v_mul_f32_e32 v204, 0x4f7ffffe, v204                       // 000000002D8C: 0B9998FF 4F7FFFFE
	v_cvt_u32_f32_e32 v204, v204                               // 000000002D94: 7F980FCC
	v_mul_lo_u32 v205, v192, v204                              // 000000002D98: D28500CD 000399C0
	v_mul_hi_u32 v205, v204, v205                              // 000000002DA0: D28600CD 00039BCC
	v_add_u32_e32 v204, v204, v205                             // 000000002DA8: 69999BCC
	v_mul_hi_u32 v204, v189, v204                              // 000000002DAC: D28600CC 000399BD
	v_mul_lo_u32 v205, v204, s53                               // 000000002DB4: D28500CD 00006BCC
	v_sub_u32_e32 v207, v189, v205                             // 000000002DBC: 6B9F9BBD
	v_add_u32_e32 v206, 1, v204                                // 000000002DC0: 699D9881
	v_cmp_le_u32_e32 vcc, s53, v207                            // 000000002DC4: 7D979E35
	v_subrev_u32_e32 v205, s53, v207                           // 000000002DC8: 6D9B9E35
	s_nop 0                                                    // 000000002DCC: BF800000
	v_cndmask_b32_e32 v204, v204, v206, vcc                    // 000000002DD0: 01999DCC
	v_cndmask_b32_e32 v207, v207, v205, vcc                    // 000000002DD4: 019F9BCF
	v_add_u32_e32 v205, 1, v204                                // 000000002DD8: 699B9881
	v_cmp_le_u32_e32 vcc, s53, v207                            // 000000002DDC: 7D979E35
	s_nop 1                                                    // 000000002DE0: BF800001
	v_cndmask_b32_e32 v192, v204, v205, vcc                    // 000000002DE4: 01819BCC
	v_mul_i32_i24_e32 v206, s53, v192                          // 000000002DE8: 0D9D8035
	v_sub_u32_e32 v206, v189, v206                             // 000000002DEC: 6B9D9DBD
	v_lshlrev_b32_e32 v207, 2, v206                            // 000000002DF0: 259F9C82
	v_mul_u32_u24_e32 v238, s54, v192                          // 000000002DF4: 11DD8036
	v_add_u32_e32 v238, v207, v238                             // 000000002DF8: 69DDDDCF
	v_mul_u32_u24_e32 v207, 0x200, v206                        // 000000002DFC: 119F9CFF 00000200
	v_mul_u32_u24_e32 v241, s55, v192                          // 000000002E04: 11E38037
	v_add3_u32 v241, v207, v241, v196                          // 000000002E08: D1FF00F1 0713E3CF
	v_cvt_f32_u32_e32 v204, s53                                // 000000002E10: 7F980C35
	v_sub_i32 v192, 0, s53                                     // 000000002E14: D29D00C0 00006A80
	v_rcp_iflag_f32_e32 v204, v204                             // 000000002E1C: 7F9847CC
	s_nop 0                                                    // 000000002E20: BF800000
	v_mul_f32_e32 v204, 0x4f7ffffe, v204                       // 000000002E24: 0B9998FF 4F7FFFFE
	v_cvt_u32_f32_e32 v204, v204                               // 000000002E2C: 7F980FCC
	v_mul_lo_u32 v205, v192, v204                              // 000000002E30: D28500CD 000399C0
	v_mul_hi_u32 v205, v204, v205                              // 000000002E38: D28600CD 00039BCC
	v_add_u32_e32 v204, v204, v205                             // 000000002E40: 69999BCC
	v_mul_hi_u32 v204, v190, v204                              // 000000002E44: D28600CC 000399BE
	v_mul_lo_u32 v205, v204, s53                               // 000000002E4C: D28500CD 00006BCC
	v_sub_u32_e32 v207, v190, v205                             // 000000002E54: 6B9F9BBE
	v_add_u32_e32 v206, 1, v204                                // 000000002E58: 699D9881
	v_cmp_le_u32_e32 vcc, s53, v207                            // 000000002E5C: 7D979E35
	v_subrev_u32_e32 v205, s53, v207                           // 000000002E60: 6D9B9E35
	s_nop 0                                                    // 000000002E64: BF800000
	v_cndmask_b32_e32 v204, v204, v206, vcc                    // 000000002E68: 01999DCC
	v_cndmask_b32_e32 v207, v207, v205, vcc                    // 000000002E6C: 019F9BCF
	v_add_u32_e32 v205, 1, v204                                // 000000002E70: 699B9881
	v_cmp_le_u32_e32 vcc, s53, v207                            // 000000002E74: 7D979E35
	s_nop 1                                                    // 000000002E78: BF800001
	v_cndmask_b32_e32 v192, v204, v205, vcc                    // 000000002E7C: 01819BCC
	v_mul_i32_i24_e32 v206, s53, v192                          // 000000002E80: 0D9D8035
	v_sub_u32_e32 v206, v190, v206                             // 000000002E84: 6B9D9DBE
	v_lshlrev_b32_e32 v207, 2, v206                            // 000000002E88: 259F9C82
	v_mul_u32_u24_e32 v239, s54, v192                          // 000000002E8C: 11DF8036
	v_add_u32_e32 v239, v207, v239                             // 000000002E90: 69DFDFCF
	v_mul_u32_u24_e32 v207, 0x200, v206                        // 000000002E94: 119F9CFF 00000200
	v_mul_u32_u24_e32 v242, s55, v192                          // 000000002E9C: 11E58037
	v_add3_u32 v242, v207, v242, v196                          // 000000002EA0: D1FF00F2 0713E5CF
	s_mul_i32 s54, s57, 64                                     // 000000002EA8: 9236C039
	v_and_b32_e32 v204, 15, v0                                 // 000000002EAC: 2798008F
	v_mul_i32_i24_e32 v204, 0x100, v204                        // 000000002EB0: 0D9998FF 00000100
	v_lshrrev_b32_e32 v205, 4, v0                              // 000000002EB8: 219A0084
	v_mul_i32_i24_e32 v205, 16, v205                           // 000000002EBC: 0D9B9A90
	v_add3_u32 v243, v204, v205, s54                           // 000000002EC0: D1FF00F3 00DB9BCC
	v_and_b32_e32 v245, 15, v0                                 // 000000002EC8: 27EA008F
	v_mul_i32_i24_e32 v245, 16, v245                           // 000000002ECC: 0DEBEA90
	s_mul_i32 s54, s57, 0x240                                  // 000000002ED0: 9236FF39 00000240
	v_lshrrev_b32_e32 v204, 4, v0                              // 000000002ED8: 21980084
	v_lshlrev_b32_e32 v204, 7, v204                            // 000000002EDC: 25999887
	v_lshrrev_b32_e32 v205, 5, v0                              // 000000002EE0: 219A0085
	v_lshlrev_b32_e32 v205, 5, v205                            // 000000002EE4: 259B9A85
	v_and_b32_e32 v206, 15, v0                                 // 000000002EE8: 279C008F
	v_lshlrev_b32_e32 v206, 3, v206                            // 000000002EEC: 259D9C83
	v_add3_u32 v204, v204, v205, v206                          // 000000002EF0: D1FF00CC 073B9BCC
	v_add_u32_e32 v244, s54, v204                              // 000000002EF8: 69E99836
	v_and_b32_e32 v204, 15, v0                                 // 000000002EFC: 2798008F
	v_lshlrev_b32_e32 v205, 7, v204                            // 000000002F00: 259B9887
	v_lshrrev_b32_e32 v204, 1, v204                            // 000000002F04: 21999881
	v_lshlrev_b32_e32 v204, 5, v204                            // 000000002F08: 25999885
	v_lshrrev_b32_e32 v206, 4, v0                              // 000000002F0C: 219C0084
	v_lshlrev_b32_e32 v206, 4, v206                            // 000000002F10: 259D9C84
	v_add3_u32 v246, v204, v205, v206                          // 000000002F14: D1FF00F6 073B9BCC
	s_mul_i32 s54, s57, 0x240                                  // 000000002F1C: 9236FF39 00000240
	v_lshrrev_b32_e32 v204, 5, v0                              // 000000002F24: 21980085
	v_mul_i32_i24_e32 v204, 0x120, v204                        // 000000002F28: 0D9998FF 00000120
	v_lshrrev_b32_e32 v205, 4, v0                              // 000000002F30: 219A0084
	v_and_b32_e32 v205, 1, v205                                // 000000002F34: 279B9A81
	v_lshlrev_b32_e32 v205, 3, v205                            // 000000002F38: 259B9A83
	v_and_b32_e32 v206, 15, v0                                 // 000000002F3C: 279C008F
	v_lshlrev_b32_e32 v206, 4, v206                            // 000000002F40: 259D9C84
	v_add3_u32 v247, v204, v205, v206                          // 000000002F44: D1FF00F7 073B9BCC
	v_add_u32_e32 v247, s54, v247                              // 000000002F4C: 69EFEE36
	s_lshl_b32 s54, s57, 6                                     // 000000002F50: 8E368639
	v_lshrrev_b32_e32 v204, 4, v0                              // 000000002F54: 21980084
	v_lshlrev_b32_e32 v204, 4, v204                            // 000000002F58: 25999884
	v_and_b32_e32 v205, 15, v0                                 // 000000002F5C: 279A008F
	v_mul_i32_i24_e32 v205, 0x120, v205                        // 000000002F60: 0D9B9AFF 00000120
	v_add3_u32 v248, v204, v205, s54                           // 000000002F68: D1FF00F8 00DB9BCC
	v_lshrrev_b32_e32 v204, 4, v0                              // 000000002F70: 21980084
	v_and_b32_e32 v205, 15, v0                                 // 000000002F74: 279A008F
	v_lshlrev_b32_e32 v206, 4, v205                            // 000000002F78: 259D9A84
	v_mul_i32_i24_e32 v229, 0x4000, v204                       // 000000002F7C: 0DCB98FF 00004000
	v_add_u32_e32 v229, v206, v229                             // 000000002F84: 69CBCBCE
	v_add_u32_e32 v230, 0x10000, v229                          // 000000002F88: 69CDCAFF 00010000
	v_mul_i32_i24_e32 v231, 0x800, v204                        // 000000002F90: 0DCF98FF 00000800
	v_add_u32_e32 v231, v206, v231                             // 000000002F98: 69CFCFCE
	v_add_u32_e32 v232, 0x2000, v231                           // 000000002F9C: 69D1CEFF 00002000
	v_add_u32_e32 v233, 0x2000, v232                           // 000000002FA4: 69D3D0FF 00002000
	v_add_u32_e32 v234, 0x2000, v233                           // 000000002FAC: 69D5D2FF 00002000
	v_lshlrev_b32_e32 v204, 2, v204                            // 000000002FB4: 25999882
	v_lshrrev_b32_e32 v205, 2, v205                            // 000000002FB8: 219B9A82
	v_lshlrev_b32_e32 v205, 6, v205                            // 000000002FBC: 259B9A86
	v_and_b32_e32 v206, 3, v0                                  // 000000002FC0: 279C0083
	v_add3_u32 v204, v204, v205, v206                          // 000000002FC4: D1FF00CC 073B9BCC
	v_lshlrev_b32_e32 v235, 2, v204                            // 000000002FCC: 25D79882
	v_mov_b32_e32 v236, v235                                   // 000000002FD0: 7FD803EB
	s_lshl_b32 s54, s57, 4                                     // 000000002FD4: 8E368439
	v_lshrrev_b32_e32 v221, 4, v0                              // 000000002FD8: 21BA0084
	v_lshlrev_b32_e32 v221, 2, v221                            // 000000002FDC: 25BBBA82
	v_add_u32_e32 v221, s54, v221                              // 000000002FE0: 69BBBA36
	s_lshl_b32 s54, s57, 6                                     // 000000002FE4: 8E368639
	v_lshrrev_b32_e32 v204, 4, v0                              // 000000002FE8: 21980084
	v_lshlrev_b32_e32 v204, 8, v204                            // 000000002FEC: 25999888
	v_and_b32_e32 v205, 15, v0                                 // 000000002FF0: 279A008F
	v_lshlrev_b32_e32 v205, 2, v205                            // 000000002FF4: 259B9A82
	v_add3_u32 v249, s54, v204, v205                           // 000000002FF8: D1FF00F9 07379836
	v_lshlrev_b32_e32 v249, 2, v249                            // 000000003000: 25F3F282
	v_and_b32_e32 v250, 15, v0                                 // 000000003004: 27F4008F
	v_lshlrev_b32_e32 v250, 4, v250                            // 000000003008: 25F5F484
	s_lshl_b32 s54, s57, 8                                     // 00000000300C: 8E368839
	v_and_b32_e32 v205, 15, v0                                 // 000000003010: 279A008F
	v_lshlrev_b32_e32 v205, 4, v205                            // 000000003014: 259B9A84
	v_lshrrev_b32_e32 v206, 4, v0                              // 000000003018: 219C0084
	v_lshlrev_b32_e32 v206, 2, v206                            // 00000000301C: 259D9C82
	v_add3_u32 v251, v205, v206, s54                           // 000000003020: D1FF00FB 00DB9DCD
	v_and_b32_e32 v204, 15, v0                                 // 000000003028: 2798008F
	v_lshlrev_b32_e32 v204, 4, v204                            // 00000000302C: 25999884
	v_lshrrev_b32_e32 v205, 4, v0                              // 000000003030: 219A0084
	v_lshlrev_b32_e32 v205, 8, v205                            // 000000003034: 259B9A88
	v_add_u32_e32 v252, v204, v205                             // 000000003038: 69F99BCC
	s_waitcnt lgkmcnt(0)                                       // 00000000303C: BF8CC07F

0000000000003040 <label_0210>:
	s_cmp_lt_i32 s80, s81                                      // 000000003040: BF045150
	s_cbranch_scc0 label_47FB                                  // 000000003044: BF8445E9
	s_lshl_b32 s54, s80, 5                                     // 000000003048: 8E368550
	s_load_dwordx8 s[72:79], s[38:39], s54                     // 00000000304C: C00C1213 00000036
	v_mov_b32_e32 v164, 0xff7fffff                             // 000000003054: 7F4802FF FF7FFFFF
	v_mov_b64_e32 v[170:171], 0                                // 00000000305C: 7F547080
	v_mov_b64_e32 v[176:177], 0                                // 000000003060: 7F607080
	v_mov_b64_e32 v[158:159], 0                                // 000000003064: 7F3C7080
	v_mov_b32_e32 v165, 0xff7fffff                             // 000000003068: 7F4A02FF FF7FFFFF
	v_mov_b64_e32 v[172:173], 0                                // 000000003070: 7F587080
	v_mov_b64_e32 v[178:179], 0                                // 000000003074: 7F647080
	v_mov_b64_e32 v[160:161], 0                                // 000000003078: 7F407080
	v_mov_b32_e32 v166, 0xff7fffff                             // 00000000307C: 7F4C02FF FF7FFFFF
	v_mov_b64_e32 v[174:175], 0                                // 000000003084: 7F5C7080
	v_mov_b64_e32 v[180:181], 0                                // 000000003088: 7F687080
	v_mov_b64_e32 v[162:163], 0                                // 00000000308C: 7F447080
	v_mov_b32_e32 v124, 0                                      // 000000003090: 7EF80280
	v_mov_b32_e32 v100, 0                                      // 000000003094: 7EC80280
	v_mov_b32_e32 v125, 0                                      // 000000003098: 7EFA0280
	v_mov_b32_e32 v101, 0                                      // 00000000309C: 7ECA0280
	v_mov_b32_e32 v126, 0                                      // 0000000030A0: 7EFC0280
	v_mov_b32_e32 v102, 0                                      // 0000000030A4: 7ECC0280
	v_mov_b32_e32 v127, 0                                      // 0000000030A8: 7EFE0280
	v_mov_b32_e32 v103, 0                                      // 0000000030AC: 7ECE0280
	v_mov_b32_e32 v128, 0                                      // 0000000030B0: 7F000280
	v_mov_b32_e32 v104, 0                                      // 0000000030B4: 7ED00280
	v_mov_b32_e32 v129, 0                                      // 0000000030B8: 7F020280
	v_mov_b32_e32 v105, 0                                      // 0000000030BC: 7ED20280
	v_mov_b32_e32 v130, 0                                      // 0000000030C0: 7F040280
	v_mov_b32_e32 v106, 0                                      // 0000000030C4: 7ED40280
	v_mov_b32_e32 v131, 0                                      // 0000000030C8: 7F060280
	v_mov_b32_e32 v107, 0                                      // 0000000030CC: 7ED60280
	v_mov_b32_e32 v132, 0                                      // 0000000030D0: 7F080280
	v_mov_b32_e32 v108, 0                                      // 0000000030D4: 7ED80280
	v_mov_b32_e32 v133, 0                                      // 0000000030D8: 7F0A0280
	v_mov_b32_e32 v109, 0                                      // 0000000030DC: 7EDA0280
	v_mov_b32_e32 v134, 0                                      // 0000000030E0: 7F0C0280
	v_mov_b32_e32 v110, 0                                      // 0000000030E4: 7EDC0280
	v_mov_b32_e32 v135, 0                                      // 0000000030E8: 7F0E0280
	v_mov_b32_e32 v111, 0                                      // 0000000030EC: 7EDE0280
	v_mov_b32_e32 v136, 0                                      // 0000000030F0: 7F100280
	v_mov_b32_e32 v112, 0                                      // 0000000030F4: 7EE00280
	v_mov_b32_e32 v137, 0                                      // 0000000030F8: 7F120280
	v_mov_b32_e32 v113, 0                                      // 0000000030FC: 7EE20280
	v_mov_b32_e32 v138, 0                                      // 000000003100: 7F140280
	v_mov_b32_e32 v114, 0                                      // 000000003104: 7EE40280
	v_mov_b32_e32 v139, 0                                      // 000000003108: 7F160280
	v_mov_b32_e32 v115, 0                                      // 00000000310C: 7EE60280
	v_mov_b32_e32 v140, 0                                      // 000000003110: 7F180280
	v_mov_b32_e32 v116, 0                                      // 000000003114: 7EE80280
	v_mov_b32_e32 v141, 0                                      // 000000003118: 7F1A0280
	v_mov_b32_e32 v117, 0                                      // 00000000311C: 7EEA0280
	v_mov_b32_e32 v142, 0                                      // 000000003120: 7F1C0280
	v_mov_b32_e32 v118, 0                                      // 000000003124: 7EEC0280
	v_mov_b32_e32 v143, 0                                      // 000000003128: 7F1E0280
	v_mov_b32_e32 v119, 0                                      // 00000000312C: 7EEE0280
	v_mov_b32_e32 v144, 0                                      // 000000003130: 7F200280
	v_mov_b32_e32 v120, 0                                      // 000000003134: 7EF00280
	v_mov_b32_e32 v145, 0                                      // 000000003138: 7F220280
	v_mov_b32_e32 v121, 0                                      // 00000000313C: 7EF20280
	v_mov_b32_e32 v146, 0                                      // 000000003140: 7F240280
	v_mov_b32_e32 v122, 0                                      // 000000003144: 7EF40280
	v_mov_b32_e32 v147, 0                                      // 000000003148: 7F260280
	v_mov_b32_e32 v123, 0                                      // 00000000314C: 7EF60280
	s_waitcnt lgkmcnt(0)                                       // 000000003150: BF8CC07F
	s_mul_i32 s64, s76, 0x400                                  // 000000003154: 9240FF4C 00000400
	s_lshl_b32 s54, s72, 2                                     // 00000000315C: 8E368248
	s_load_dword s60, s[44:45], s54                            // 000000003160: C0000F16 00000036
	s_load_dword s61, s[40:41], s54                            // 000000003168: C0000F54 00000036
	s_lshl_b32 s68, s76, 2                                     // 000000003170: 8E44824C
	s_cmp_lt_u32 s76, s77                                      // 000000003174: BF0A4D4C
	s_cselect_b32 s68, s68, 0                                  // 000000003178: 85448044
	s_addk_i32 s76, 0x1                                        // 00000000317C: B74C0001
	s_load_dword s59, s[42:43], s68                            // 000000003180: C0000ED5 00000044
	s_and_b32 s79, s79, 0xffff                                 // 000000003188: 864FFF4F 0000FFFF
	v_cvt_f32_u32_e32 v204, s53                                // 000000003190: 7F980C35
	s_sub_i32 s78, 0, s53                                      // 000000003194: 81CE3580
	v_rcp_iflag_f32_e32 v204, v204                             // 000000003198: 7F9847CC
	s_nop 0                                                    // 00000000319C: BF800000
	v_mul_f32_e32 v204, 0x4f7ffffe, v204                       // 0000000031A0: 0B9998FF 4F7FFFFE
	v_cvt_u32_f32_e32 v204, v204                               // 0000000031A8: 7F980FCC
	v_mul_lo_u32 v205, s78, v204                               // 0000000031AC: D28500CD 0003984E
	v_mul_hi_u32 v205, v204, v205                              // 0000000031B4: D28600CD 00039BCC
	v_add_u32_e32 v204, v204, v205                             // 0000000031BC: 69999BCC
	v_mul_hi_u32 v204, s79, v204                               // 0000000031C0: D28600CC 0003984F
	v_mul_lo_u32 v205, v204, s53                               // 0000000031C8: D28500CD 00006BCC
	v_sub_u32_e32 v207, s79, v205                              // 0000000031D0: 6B9F9A4F
	v_add_u32_e32 v206, 1, v204                                // 0000000031D4: 699D9881
	v_cmp_le_u32_e32 vcc, s53, v207                            // 0000000031D8: 7D979E35
	v_subrev_u32_e32 v205, s53, v207                           // 0000000031DC: 6D9B9E35
	s_nop 0                                                    // 0000000031E0: BF800000
	v_cndmask_b32_e32 v204, v204, v206, vcc                    // 0000000031E4: 01999DCC
	v_cndmask_b32_e32 v207, v207, v205, vcc                    // 0000000031E8: 019F9BCF
	v_add_u32_e32 v205, 1, v204                                // 0000000031EC: 699B9881
	v_cmp_le_u32_e32 vcc, s53, v207                            // 0000000031F0: 7D979E35
	s_nop 1                                                    // 0000000031F4: BF800001
	v_cndmask_b32_e32 v207, v204, v205, vcc                    // 0000000031F8: 019F9BCC
	s_nop 3                                                    // 0000000031FC: BF800003
	v_readfirstlane_b32 s78, v207                              // 000000003200: 7E9C05CF
	s_nop 3                                                    // 000000003204: BF800003
	s_mul_i32 s65, s53, 0x100                                  // 000000003208: 9241FF35 00000100
	s_add_u32 s54, s52, 1                                      // 000000003210: 80368134
	s_mul_i32 s54, s49, s54                                    // 000000003214: 92363631
	s_mul_i32 s54, s72, s54                                    // 000000003218: 92363648
	s_mul_i32 s55, s78, s65                                    // 00000000321C: 9237414E
	s_add_u32 s54, s54, s55                                    // 000000003220: 80363736
	s_add_u32 s8, s84, s54                                     // 000000003224: 80083654
	s_addc_u32 s9, s85, 0                                      // 000000003228: 82098055
	s_mul_i32 s54, s52, s49                                    // 00000000322C: 92363134
	s_add_u32 s10, s54, s65                                    // 000000003230: 800A4136
	s_add_u32 s54, s52, 1                                      // 000000003234: 80368134
	s_mul_i32 s54, s54, s67                                    // 000000003238: 92364336
	s_mul_i32 s54, s54, s72                                    // 00000000323C: 92364836
	s_mul_i32 s55, s78, s65                                    // 000000003240: 9237414E
	s_add_u32 s54, s54, s55                                    // 000000003244: 80363736
	s_add_u32 s4, s82, s54                                     // 000000003248: 80043652
	s_addc_u32 s5, s83, 0                                      // 00000000324C: 82058053
	s_mul_i32 s54, s52, s67                                    // 000000003250: 92364334
	s_add_u32 s6, s54, s65                                     // 000000003254: 80064136
	s_mul_i32 s55, s53, 0x200                                  // 000000003258: 9237FF35 00000200
	s_mul_i32 s54, s73, s48                                    // 000000003260: 92363049
	s_add_u32 s54, s54, s78                                    // 000000003264: 80364E36
	s_mul_i32 s54, s54, s55                                    // 000000003268: 92363736
	s_add_u32 s28, s94, s54                                    // 00000000326C: 801C365E
	s_addc_u32 s29, s95, 0                                     // 000000003270: 821D805F
	s_add_u32 s54, s52, 1                                      // 000000003274: 80368134
	s_mul_i32 s54, s54, s48                                    // 000000003278: 92363036
	s_mul_i32 s30, s54, s55                                    // 00000000327C: 921E3736
	s_mul_i32 s55, s53, 4                                      // 000000003280: 92378435
	s_mul_i32 s54, s73, s48                                    // 000000003284: 92363049
	s_add_u32 s54, s54, s78                                    // 000000003288: 80364E36
	s_mul_i32 s54, s54, s55                                    // 00000000328C: 92363736
	s_add_u32 s32, s96, s54                                    // 000000003290: 80203660
	s_addc_u32 s33, s97, 0                                     // 000000003294: 82218061
	s_add_u32 s54, s52, 1                                      // 000000003298: 80368134
	s_mul_i32 s54, s54, s48                                    // 00000000329C: 92363036
	s_mul_i32 s34, s54, s55                                    // 0000000032A0: 92223736
	buffer_load_dwordx4 v[4:7], v223, s[8:11], 0 offen         // 0000000032A4: E05C1000 800204DF
	buffer_load_dwordx4 v[8:11], v224, s[8:11], 0 offen        // 0000000032AC: E05C1000 800208E0
	buffer_load_dwordx4 v[12:15], v225, s[8:11], 0 offen       // 0000000032B4: E05C1000 80020CE1
	s_waitcnt lgkmcnt(0)                                       // 0000000032BC: BF8CC07F
	s_mul_i32 s54, s60, 0x400                                  // 0000000032C0: 9236FF3C 00000400
	s_sub_i32 s64, s64, s54                                    // 0000000032C8: 81C03640
	s_mul_i32 s69, s59, s50                                    // 0000000032CC: 9245323B
	s_mul_i32 s71, s59, s66                                    // 0000000032D0: 9247423B
	s_mul_i32 s54, s78, s51                                    // 0000000032D4: 9236334E
	s_add_u32 s69, s69, s54                                    // 0000000032D8: 80453645
	s_mov_b32 s70, s69                                         // 0000000032DC: BEC60045
	s_mul_i32 s54, s78, s100                                   // 0000000032E0: 9236644E
	s_add_u32 s71, s71, s54                                    // 0000000032E4: 80473647
	s_add_u32 s12, s86, s69                                    // 0000000032E8: 800C4556
	s_addc_u32 s13, s87, 0                                     // 0000000032EC: 820D8057
	s_add_u32 s16, s88, s70                                    // 0000000032F0: 80104658
	s_addc_u32 s17, s89, 0                                     // 0000000032F4: 82118059
	s_add_u32 s20, s90, s71                                    // 0000000032F8: 8014475A
	s_addc_u32 s21, s91, 0                                     // 0000000032FC: 8215805B
	s_add_u32 s24, s92, s71                                    // 000000003300: 8018475C
	s_addc_u32 s25, s93, 0                                     // 000000003304: 8219805D
	s_add_u32 s69, s69, 0x1000                                 // 000000003308: 8045FF45 00001000
	s_add_u32 s70, s70, 0x8000                                 // 000000003310: 8046FF46 00008000
	s_add_u32 s71, s71, 0x400                                  // 000000003318: 8047FF47 00000400
	buffer_load_dwordx4 a[24:27], v229, s[12:15], 0 offen      // 000000003320: E05C1000 808318E5
	buffer_load_dwordx4 a[28:31], v230, s[12:15], 0 offen      // 000000003328: E05C1000 80831CE6
	buffer_load_dwordx4 a[32:35], v229, s[12:15], 0 offen offset:1024// 000000003330: E05C1400 808320E5
	buffer_load_dwordx4 a[36:39], v230, s[12:15], 0 offen offset:1024// 000000003338: E05C1400 808324E6
	buffer_load_dwordx4 a[40:43], v229, s[12:15], 0 offen offset:2048// 000000003340: E05C1800 808328E5
	buffer_load_dwordx4 a[44:47], v230, s[12:15], 0 offen offset:2048// 000000003348: E05C1800 80832CE6
	buffer_load_dwordx4 a[48:51], v229, s[12:15], 0 offen offset:3072// 000000003350: E05C1C00 808330E5
	buffer_load_dwordx4 a[52:55], v230, s[12:15], 0 offen offset:3072// 000000003358: E05C1C00 808334E6
	buffer_load_dword v154, v235, s[20:23], 0 offen            // 000000003360: E0501000 80059AEB
	buffer_load_dword v156, v236, s[24:27], 0 offen            // 000000003368: E0501000 80069CEC
	buffer_load_dwordx4 a[88:91], v231, s[16:19], 0 offen      // 000000003370: E05C1000 808458E7
	buffer_load_dwordx4 a[92:95], v232, s[16:19], 0 offen      // 000000003378: E05C1000 80845CE8
	buffer_load_dwordx4 a[96:99], v233, s[16:19], 0 offen      // 000000003380: E05C1000 808460E9
	buffer_load_dwordx4 a[100:103], v234, s[16:19], 0 offen    // 000000003388: E05C1000 808464EA
	buffer_load_dwordx4 a[104:107], v231, s[16:19], 0 offen offset:1024// 000000003390: E05C1400 808468E7
	buffer_load_dwordx4 a[108:111], v232, s[16:19], 0 offen offset:1024// 000000003398: E05C1400 80846CE8
	buffer_load_dwordx4 a[112:115], v233, s[16:19], 0 offen offset:1024// 0000000033A0: E05C1400 808470E9
	buffer_load_dwordx4 a[116:119], v234, s[16:19], 0 offen offset:1024// 0000000033A8: E05C1400 808474EA
	s_sub_i32 s54, s77, s60                                    // 0000000033B0: 81B63C4D
	s_mul_i32 s62, s54, 0x400                                  // 0000000033B4: 923EFF36 00000400
	s_cmp_lt_i32 s62, s61                                      // 0000000033BC: BF043D3E
	s_cselect_b32 s62, s62, s61                                // 0000000033C0: 853E3D3E
	s_sub_i32 s54, s61, s52                                    // 0000000033C4: 81B6343D
	v_and_b32_e32 v188, 15, v0                                 // 0000000033C8: 2778008F
	v_add_u32_e32 v189, 16, v188                               // 0000000033CC: 697B7890
	v_add_u32_e32 v190, 16, v189                               // 0000000033D0: 697D7A90
	s_cmp_lt_i32 s62, s54                                      // 0000000033D4: BF04363E
	s_cselect_b32 s63, s62, s54                                // 0000000033D8: 853F363E
	s_and_b32 s63, s63, 0xffffff00                             // 0000000033DC: 863FFF3F FFFFFF00
	v_cvt_f32_u32_e32 v204, s53                                // 0000000033E4: 7F980C35
	v_sub_i32 v192, 0, s53                                     // 0000000033E8: D29D00C0 00006A80
	v_rcp_iflag_f32_e32 v204, v204                             // 0000000033F0: 7F9847CC
	s_nop 0                                                    // 0000000033F4: BF800000
	v_mul_f32_e32 v204, 0x4f7ffffe, v204                       // 0000000033F8: 0B9998FF 4F7FFFFE
	v_cvt_u32_f32_e32 v204, v204                               // 000000003400: 7F980FCC
	v_mul_lo_u32 v205, v192, v204                              // 000000003404: D28500CD 000399C0
	v_mul_hi_u32 v205, v204, v205                              // 00000000340C: D28600CD 00039BCC
	v_add_u32_e32 v204, v204, v205                             // 000000003414: 69999BCC
	v_mul_hi_u32 v204, v188, v204                              // 000000003418: D28600CC 000399BC
	v_mul_lo_u32 v205, v204, s53                               // 000000003420: D28500CD 00006BCC
	v_sub_u32_e32 v207, v188, v205                             // 000000003428: 6B9F9BBC
	v_add_u32_e32 v206, 1, v204                                // 00000000342C: 699D9881
	v_cmp_le_u32_e32 vcc, s53, v207                            // 000000003430: 7D979E35
	v_subrev_u32_e32 v205, s53, v207                           // 000000003434: 6D9B9E35
	s_nop 0                                                    // 000000003438: BF800000
	v_cndmask_b32_e32 v204, v204, v206, vcc                    // 00000000343C: 01999DCC
	v_cndmask_b32_e32 v207, v207, v205, vcc                    // 000000003440: 019F9BCF
	v_add_u32_e32 v205, 1, v204                                // 000000003444: 699B9881
	v_cmp_le_u32_e32 vcc, s53, v207                            // 000000003448: 7D979E35
	s_nop 1                                                    // 00000000344C: BF800001
	v_cndmask_b32_e32 v192, v204, v205, vcc                    // 000000003450: 01819BCC
	v_add_u32_e32 v218, s54, v192                              // 000000003454: 69B58036
	v_cmp_lt_u32_e32 vcc, s62, v218                            // 000000003458: 7D93B43E
	v_mov_b32_e32 v205, s62                                    // 00000000345C: 7F9A023E
	v_cndmask_b32_e32 v218, v218, v205, vcc                    // 000000003460: 01B59BDA
	v_cvt_f32_u32_e32 v204, s53                                // 000000003464: 7F980C35
	v_sub_i32 v192, 0, s53                                     // 000000003468: D29D00C0 00006A80
	v_rcp_iflag_f32_e32 v204, v204                             // 000000003470: 7F9847CC
	s_nop 0                                                    // 000000003474: BF800000
	v_mul_f32_e32 v204, 0x4f7ffffe, v204                       // 000000003478: 0B9998FF 4F7FFFFE
	v_cvt_u32_f32_e32 v204, v204                               // 000000003480: 7F980FCC
	v_mul_lo_u32 v205, v192, v204                              // 000000003484: D28500CD 000399C0
	v_mul_hi_u32 v205, v204, v205                              // 00000000348C: D28600CD 00039BCC
	v_add_u32_e32 v204, v204, v205                             // 000000003494: 69999BCC
	v_mul_hi_u32 v204, v189, v204                              // 000000003498: D28600CC 000399BD
	v_mul_lo_u32 v205, v204, s53                               // 0000000034A0: D28500CD 00006BCC
	v_sub_u32_e32 v207, v189, v205                             // 0000000034A8: 6B9F9BBD
	v_add_u32_e32 v206, 1, v204                                // 0000000034AC: 699D9881
	v_cmp_le_u32_e32 vcc, s53, v207                            // 0000000034B0: 7D979E35
	v_subrev_u32_e32 v205, s53, v207                           // 0000000034B4: 6D9B9E35
	s_nop 0                                                    // 0000000034B8: BF800000
	v_cndmask_b32_e32 v204, v204, v206, vcc                    // 0000000034BC: 01999DCC
	v_cndmask_b32_e32 v207, v207, v205, vcc                    // 0000000034C0: 019F9BCF
	v_add_u32_e32 v205, 1, v204                                // 0000000034C4: 699B9881
	v_cmp_le_u32_e32 vcc, s53, v207                            // 0000000034C8: 7D979E35
	s_nop 1                                                    // 0000000034CC: BF800001
	v_cndmask_b32_e32 v192, v204, v205, vcc                    // 0000000034D0: 01819BCC
	v_add_u32_e32 v219, s54, v192                              // 0000000034D4: 69B78036
	v_cmp_lt_u32_e32 vcc, s62, v219                            // 0000000034D8: 7D93B63E
	v_mov_b32_e32 v205, s62                                    // 0000000034DC: 7F9A023E
	v_cndmask_b32_e32 v219, v219, v205, vcc                    // 0000000034E0: 01B79BDB
	v_cvt_f32_u32_e32 v204, s53                                // 0000000034E4: 7F980C35
	v_sub_i32 v192, 0, s53                                     // 0000000034E8: D29D00C0 00006A80
	v_rcp_iflag_f32_e32 v204, v204                             // 0000000034F0: 7F9847CC
	s_nop 0                                                    // 0000000034F4: BF800000
	v_mul_f32_e32 v204, 0x4f7ffffe, v204                       // 0000000034F8: 0B9998FF 4F7FFFFE
	v_cvt_u32_f32_e32 v204, v204                               // 000000003500: 7F980FCC
	v_mul_lo_u32 v205, v192, v204                              // 000000003504: D28500CD 000399C0
	v_mul_hi_u32 v205, v204, v205                              // 00000000350C: D28600CD 00039BCC
	v_add_u32_e32 v204, v204, v205                             // 000000003514: 69999BCC
	v_mul_hi_u32 v204, v190, v204                              // 000000003518: D28600CC 000399BE
	v_mul_lo_u32 v205, v204, s53                               // 000000003520: D28500CD 00006BCC
	v_sub_u32_e32 v207, v190, v205                             // 000000003528: 6B9F9BBE
	v_add_u32_e32 v206, 1, v204                                // 00000000352C: 699D9881
	v_cmp_le_u32_e32 vcc, s53, v207                            // 000000003530: 7D979E35
	v_subrev_u32_e32 v205, s53, v207                           // 000000003534: 6D9B9E35
	s_nop 0                                                    // 000000003538: BF800000
	v_cndmask_b32_e32 v204, v204, v206, vcc                    // 00000000353C: 01999DCC
	v_cndmask_b32_e32 v207, v207, v205, vcc                    // 000000003540: 019F9BCF
	v_add_u32_e32 v205, 1, v204                                // 000000003544: 699B9881
	v_cmp_le_u32_e32 vcc, s53, v207                            // 000000003548: 7D979E35
	s_nop 1                                                    // 00000000354C: BF800001
	v_cndmask_b32_e32 v192, v204, v205, vcc                    // 000000003550: 01819BCC
	v_add_u32_e32 v220, s54, v192                              // 000000003554: 69B98036
	v_cmp_lt_u32_e32 vcc, s62, v220                            // 000000003558: 7D93B83E
	v_mov_b32_e32 v205, s62                                    // 00000000355C: 7F9A023E
	v_cndmask_b32_e32 v220, v220, v205, vcc                    // 000000003560: 01B99BDC
	s_waitcnt vmcnt(18)                                        // 000000003564: BF8C4F72
	v_lshlrev_b32_e32 v16, 16, v4                              // 000000003568: 24200890
	v_and_b32_e32 v17, 0xffff0000, v4                          // 00000000356C: 262208FF FFFF0000
	v_lshlrev_b32_e32 v18, 16, v5                              // 000000003574: 24240A90
	v_and_b32_e32 v19, 0xffff0000, v5                          // 000000003578: 26260AFF FFFF0000
	v_lshlrev_b32_e32 v20, 16, v6                              // 000000003580: 24280C90
	v_and_b32_e32 v21, 0xffff0000, v6                          // 000000003584: 262A0CFF FFFF0000
	v_lshlrev_b32_e32 v22, 16, v7                              // 00000000358C: 242C0E90
	v_and_b32_e32 v23, 0xffff0000, v7                          // 000000003590: 262E0EFF FFFF0000
	v_lshlrev_b32_e32 v24, 16, v8                              // 000000003598: 24301090
	v_and_b32_e32 v25, 0xffff0000, v8                          // 00000000359C: 263210FF FFFF0000
	v_lshlrev_b32_e32 v26, 16, v9                              // 0000000035A4: 24341290
	v_and_b32_e32 v27, 0xffff0000, v9                          // 0000000035A8: 263612FF FFFF0000
	v_lshlrev_b32_e32 v28, 16, v10                             // 0000000035B0: 24381490
	v_and_b32_e32 v29, 0xffff0000, v10                         // 0000000035B4: 263A14FF FFFF0000
	v_lshlrev_b32_e32 v30, 16, v11                             // 0000000035BC: 243C1690
	v_and_b32_e32 v31, 0xffff0000, v11                         // 0000000035C0: 263E16FF FFFF0000
	v_lshlrev_b32_e32 v32, 16, v12                             // 0000000035C8: 24401890
	v_and_b32_e32 v33, 0xffff0000, v12                         // 0000000035CC: 264218FF FFFF0000
	v_lshlrev_b32_e32 v34, 16, v13                             // 0000000035D4: 24441A90
	v_and_b32_e32 v35, 0xffff0000, v13                         // 0000000035D8: 26461AFF FFFF0000
	v_lshlrev_b32_e32 v36, 16, v14                             // 0000000035E0: 24481C90
	v_and_b32_e32 v37, 0xffff0000, v14                         // 0000000035E4: 264A1CFF FFFF0000
	v_lshlrev_b32_e32 v38, 16, v15                             // 0000000035EC: 244C1E90
	v_and_b32_e32 v39, 0xffff0000, v15                         // 0000000035F0: 264E1EFF FFFF0000
	v_mov_b32_e32 v182, 0x358637bd                             // 0000000035F8: 7F6C02FF 358637BD
	v_max3_f32 v182, |v16|, |v17|, v182                        // 000000003600: D1D303B6 06DA2310
	v_max3_f32 v182, |v18|, |v19|, v182                        // 000000003608: D1D303B6 06DA2712
	v_max3_f32 v182, |v20|, |v21|, v182                        // 000000003610: D1D303B6 06DA2B14
	v_max3_f32 v182, |v22|, |v23|, v182                        // 000000003618: D1D303B6 06DA2F16
	v_mov_b32_e32 v183, 0x358637bd                             // 000000003620: 7F6E02FF 358637BD
	v_max3_f32 v183, |v24|, |v25|, v183                        // 000000003628: D1D303B7 06DE3318
	v_max3_f32 v183, |v26|, |v27|, v183                        // 000000003630: D1D303B7 06DE371A
	v_max3_f32 v183, |v28|, |v29|, v183                        // 000000003638: D1D303B7 06DE3B1C
	v_max3_f32 v183, |v30|, |v31|, v183                        // 000000003640: D1D303B7 06DE3F1E
	v_mov_b32_e32 v184, 0x358637bd                             // 000000003648: 7F7002FF 358637BD
	v_max3_f32 v184, |v32|, |v33|, v184                        // 000000003650: D1D303B8 06E24320
	v_max3_f32 v184, |v34|, |v35|, v184                        // 000000003658: D1D303B8 06E24722
	v_max3_f32 v184, |v36|, |v37|, v184                        // 000000003660: D1D303B8 06E24B24
	v_max3_f32 v184, |v38|, |v39|, v184                        // 000000003668: D1D303B8 06E24F26
	v_max_f32_dpp v182, v182, v182 row_shl:8 row_mask:0xf bank_mask:0xf bound_ctrl:1// 000000003670: 176D6CFA FF0908B6
	v_max_f32_dpp v183, v183, v183 row_shl:8 row_mask:0xf bank_mask:0xf bound_ctrl:1// 000000003678: 176F6EFA FF0908B7
	v_max_f32_dpp v184, v184, v184 row_shl:8 row_mask:0xf bank_mask:0xf bound_ctrl:1// 000000003680: 177170FA FF0908B8
	v_max_f32_dpp v182, v182, v182 row_shl:4 row_mask:0xf bank_mask:0xf bound_ctrl:1// 000000003688: 176D6CFA FF0904B6
	v_max_f32_dpp v183, v183, v183 row_shl:4 row_mask:0xf bank_mask:0xf bound_ctrl:1// 000000003690: 176F6EFA FF0904B7
	v_max_f32_dpp v184, v184, v184 row_shl:4 row_mask:0xf bank_mask:0xf bound_ctrl:1// 000000003698: 177170FA FF0904B8
	v_max_f32_dpp v182, v182, v182 row_shl:2 row_mask:0xf bank_mask:0xf bound_ctrl:1// 0000000036A0: 176D6CFA FF0902B6
	v_max_f32_dpp v183, v183, v183 row_shl:2 row_mask:0xf bank_mask:0xf bound_ctrl:1// 0000000036A8: 176F6EFA FF0902B7
	v_max_f32_dpp v184, v184, v184 row_shl:2 row_mask:0xf bank_mask:0xf bound_ctrl:1// 0000000036B0: 177170FA FF0902B8
	v_max_f32_dpp v182, v182, v182 row_shl:1 row_mask:0xf bank_mask:0xf bound_ctrl:1// 0000000036B8: 176D6CFA FF0901B6
	v_max_f32_dpp v183, v183, v183 row_shl:1 row_mask:0xf bank_mask:0xf bound_ctrl:1// 0000000036C0: 176F6EFA FF0901B7
	v_max_f32_dpp v184, v184, v184 row_shl:1 row_mask:0xf bank_mask:0xf bound_ctrl:1// 0000000036C8: 177170FA FF0901B8
	ds_write_b128 v243, v[182:185] offset:4096                 // 0000000036D0: D9BE1000 0000B6F3
	s_waitcnt lgkmcnt(0)                                       // 0000000036D8: BF8CC07F
	s_barrier                                                  // 0000000036DC: BF8A0000
	ds_read_b128 v[182:185], v245 offset:4096                  // 0000000036E0: D9FE1000 B60000F5
	s_waitcnt lgkmcnt(0)                                       // 0000000036E8: BF8CC07F
	v_rcp_f32_e32 v182, v182                                   // 0000000036EC: 7F6C45B6
	v_rcp_f32_e32 v183, v183                                   // 0000000036F0: 7F6E45B7
	v_rcp_f32_e32 v184, v184                                   // 0000000036F4: 7F7045B8
	v_mul_f32_e32 v182, 0x43700000, v182                       // 0000000036F8: 0B6D6CFF 43700000
	v_mul_f32_e32 v183, 0x43700000, v183                       // 000000003700: 0B6F6EFF 43700000
	v_mul_f32_e32 v184, 0x43700000, v184                       // 000000003708: 0B7170FF 43700000
	s_lshl_b32 s54, s57, 2                                     // 000000003710: 8E368239
	v_lshrrev_b32_e32 v207, 4, v0                              // 000000003714: 219E0084
	v_add_u32_e32 v207, s54, v207                              // 000000003718: 699F9E36
	v_lshlrev_b32_e32 v207, 2, v207                            // 00000000371C: 259F9E82
	ds_bpermute_b32 v204, v207, v182                           // 000000003720: D87E0000 CC00B6CF
	ds_bpermute_b32 v205, v207, v183                           // 000000003728: D87E0000 CD00B7CF
	ds_bpermute_b32 v206, v207, v184                           // 000000003730: D87E0000 CE00B8CF
	v_rcp_f32_e32 v148, v182                                   // 000000003738: 7F2845B6
	v_rcp_f32_e32 v150, v183                                   // 00000000373C: 7F2C45B7
	v_rcp_f32_e32 v152, v184                                   // 000000003740: 7F3045B8
	v_mov_b32_e32 v149, v148                                   // 000000003744: 7F2A0394
	v_mov_b32_e32 v151, v150                                   // 000000003748: 7F2E0396
	v_mov_b32_e32 v153, v152                                   // 00000000374C: 7F320398
	s_waitcnt lgkmcnt(0)                                       // 000000003750: BF8CC07F
	v_mul_f32_e32 v16, v16, v204                               // 000000003754: 0A219910
	v_mul_f32_e32 v17, v17, v204                               // 000000003758: 0A239911
	v_mul_f32_e32 v18, v18, v204                               // 00000000375C: 0A259912
	v_mul_f32_e32 v19, v19, v204                               // 000000003760: 0A279913
	v_mul_f32_e32 v20, v20, v204                               // 000000003764: 0A299914
	v_mul_f32_e32 v21, v21, v204                               // 000000003768: 0A2B9915
	v_mul_f32_e32 v22, v22, v204                               // 00000000376C: 0A2D9916
	v_mul_f32_e32 v23, v23, v204                               // 000000003770: 0A2F9917
	v_mul_f32_e32 v24, v24, v205                               // 000000003774: 0A319B18
	v_mul_f32_e32 v25, v25, v205                               // 000000003778: 0A339B19
	v_mul_f32_e32 v26, v26, v205                               // 00000000377C: 0A359B1A
	v_mul_f32_e32 v27, v27, v205                               // 000000003780: 0A379B1B
	v_mul_f32_e32 v28, v28, v205                               // 000000003784: 0A399B1C
	v_mul_f32_e32 v29, v29, v205                               // 000000003788: 0A3B9B1D
	v_mul_f32_e32 v30, v30, v205                               // 00000000378C: 0A3D9B1E
	v_mul_f32_e32 v31, v31, v205                               // 000000003790: 0A3F9B1F
	v_mul_f32_e32 v32, v32, v206                               // 000000003794: 0A419D20
	v_mul_f32_e32 v33, v33, v206                               // 000000003798: 0A439D21
	v_mul_f32_e32 v34, v34, v206                               // 00000000379C: 0A459D22
	v_mul_f32_e32 v35, v35, v206                               // 0000000037A0: 0A479D23
	v_mul_f32_e32 v36, v36, v206                               // 0000000037A4: 0A499D24
	v_mul_f32_e32 v37, v37, v206                               // 0000000037A8: 0A4B9D25
	v_mul_f32_e32 v38, v38, v206                               // 0000000037AC: 0A4D9D26
	v_mul_f32_e32 v39, v39, v206                               // 0000000037B0: 0A4F9D27
	v_cvt_pk_fp8_f32 v16, v16, v17                             // 0000000037B4: D2A20010 00022310
	v_cvt_pk_fp8_f32 v16, v18, v19 op_sel:[0,0,1]              // 0000000037BC: D2A24010 00022712
	v_cvt_pk_fp8_f32 v17, v20, v21                             // 0000000037C4: D2A20011 00022B14
	v_cvt_pk_fp8_f32 v17, v22, v23 op_sel:[0,0,1]              // 0000000037CC: D2A24011 00022F16
	v_cvt_pk_fp8_f32 v18, v24, v25                             // 0000000037D4: D2A20012 00023318
	v_cvt_pk_fp8_f32 v18, v26, v27 op_sel:[0,0,1]              // 0000000037DC: D2A24012 0002371A
	v_cvt_pk_fp8_f32 v19, v28, v29                             // 0000000037E4: D2A20013 00023B1C
	v_cvt_pk_fp8_f32 v19, v30, v31 op_sel:[0,0,1]              // 0000000037EC: D2A24013 00023F1E
	v_cvt_pk_fp8_f32 v20, v32, v33                             // 0000000037F4: D2A20014 00024320
	v_cvt_pk_fp8_f32 v20, v34, v35 op_sel:[0,0,1]              // 0000000037FC: D2A24014 00024722
	v_cvt_pk_fp8_f32 v21, v36, v37                             // 000000003804: D2A20015 00024B24
	v_cvt_pk_fp8_f32 v21, v38, v39 op_sel:[0,0,1]              // 00000000380C: D2A24015 00024F26
	ds_write_b64 v244, v[16:17] offset:8192                    // 000000003814: D89A2000 000010F4
	ds_write_b64 v244, v[18:19] offset:10496                   // 00000000381C: D89A2900 000012F4
	ds_write_b64 v244, v[20:21] offset:12800                   // 000000003824: D89A3200 000014F4
	s_waitcnt lgkmcnt(0)                                       // 00000000382C: BF8CC07F
	s_barrier                                                  // 000000003830: BF8A0000
	ds_read_b128 a[0:3], v246 offset:8192                      // 000000003834: DBFE2000 000000F6
	ds_read_b128 a[4:7], v246 offset:8256                      // 00000000383C: DBFE2040 040000F6
	ds_read_b128 a[8:11], v246 offset:10496                    // 000000003844: DBFE2900 080000F6
	ds_read_b128 a[12:15], v246 offset:10560                   // 00000000384C: DBFE2940 0C0000F6
	ds_read_b128 a[16:19], v246 offset:12800                   // 000000003854: DBFE3200 100000F6
	ds_read_b128 a[20:23], v246 offset:12864                   // 00000000385C: DBFE3240 140000F6
	s_waitcnt lgkmcnt(0)                                       // 000000003864: BF8CC07F
	s_cmp_lt_i32 s57, 2                                        // 000000003868: BF048239
	s_cbranch_scc0 label_1608                                  // 00000000386C: BF8411EC

0000000000003870 <label_041C>:
	s_cmp_lt_i32 s64, s63                                      // 000000003870: BF043F40
	s_cbranch_scc0 label_27F4                                  // 000000003874: BF8423D6
	s_waitcnt vmcnt(10)                                        // 000000003878: BF8C0F7A
	v_mfma_f32_16x16x32_fp8_fp8 v[4:7], a[24:25], a[0:1], 0    // 00000000387C: D3F30004 1A020118
	s_add_u32 s12, s86, s69                                    // 000000003884: 800C4556
	s_addc_u32 s13, s87, 0                                     // 000000003888: 820D8057
	v_mfma_f32_16x16x32_fp8_fp8 v[4:7], a[26:27], a[2:3], v[4:7]// 00000000388C: D3F30004 1C12051A
	s_add_u32 s16, s88, s70                                    // 000000003894: 80104658
	s_addc_u32 s17, s89, 0                                     // 000000003898: 82118059
	v_mfma_f32_16x16x32_fp8_fp8 v[4:7], a[28:29], a[4:5], v[4:7]// 00000000389C: D3F30004 1C12091C
	buffer_load_dwordx4 a[56:59], v229, s[12:15], 0 offen      // 0000000038A4: E05C1000 808338E5
	v_mfma_f32_16x16x32_fp8_fp8 v[4:7], a[30:31], a[6:7], v[4:7]// 0000000038AC: D3F30004 1C120D1E
	s_add_u32 s20, s90, s71                                    // 0000000038B4: 8014475A
	s_addc_u32 s21, s91, 0                                     // 0000000038B8: 8215805B
	v_mfma_f32_16x16x32_fp8_fp8 v[8:11], a[32:33], a[0:1], 0   // 0000000038BC: D3F30008 1A020120
	s_add_u32 s24, s92, s71                                    // 0000000038C4: 8018475C
	s_addc_u32 s25, s93, 0                                     // 0000000038C8: 8219805D
	v_mfma_f32_16x16x32_fp8_fp8 v[8:11], a[34:35], a[2:3], v[8:11]// 0000000038CC: D3F30008 1C220522
	s_add_u32 s69, s69, 0x1000                                 // 0000000038D4: 8045FF45 00001000
	s_add_u32 s70, s70, 0x8000                                 // 0000000038DC: 8046FF46 00008000
	v_mfma_f32_16x16x32_fp8_fp8 v[8:11], a[36:37], a[4:5], v[8:11]// 0000000038E4: D3F30008 1C220924
	buffer_load_dwordx4 a[60:63], v230, s[12:15], 0 offen      // 0000000038EC: E05C1000 80833CE6
	v_mfma_f32_16x16x32_fp8_fp8 v[8:11], a[38:39], a[6:7], v[8:11]// 0000000038F4: D3F30008 1C220D26
	s_add_u32 s71, s71, 0x400                                  // 0000000038FC: 8047FF47 00000400
	v_mfma_f32_16x16x32_fp8_fp8 v[12:15], a[40:41], a[0:1], 0  // 000000003904: D3F3000C 1A020128
	v_mfma_f32_16x16x32_fp8_fp8 v[12:15], a[42:43], a[2:3], v[12:15]// 00000000390C: D3F3000C 1C32052A
	v_mfma_f32_16x16x32_fp8_fp8 v[12:15], a[44:45], a[4:5], v[12:15]// 000000003914: D3F3000C 1C32092C
	buffer_load_dwordx4 a[64:67], v229, s[12:15], 0 offen offset:1024// 00000000391C: E05C1400 808340E5
	v_mfma_f32_16x16x32_fp8_fp8 v[12:15], a[46:47], a[6:7], v[12:15]// 000000003924: D3F3000C 1C320D2E
	v_mfma_f32_16x16x32_fp8_fp8 v[16:19], a[48:49], a[0:1], 0  // 00000000392C: D3F30010 1A020130
	v_mfma_f32_16x16x32_fp8_fp8 v[16:19], a[50:51], a[2:3], v[16:19]// 000000003934: D3F30010 1C420532
	v_mfma_f32_16x16x32_fp8_fp8 v[16:19], a[52:53], a[4:5], v[16:19]// 00000000393C: D3F30010 1C420934
	buffer_load_dwordx4 a[68:71], v230, s[12:15], 0 offen offset:1024// 000000003944: E05C1400 808344E6
	v_mfma_f32_16x16x32_fp8_fp8 v[16:19], a[54:55], a[6:7], v[16:19]// 00000000394C: D3F30010 1C420D36
	v_mfma_f32_16x16x32_fp8_fp8 v[20:23], a[24:25], a[8:9], 0  // 000000003954: D3F30014 1A021118
	v_mfma_f32_16x16x32_fp8_fp8 v[20:23], a[26:27], a[10:11], v[20:23]// 00000000395C: D3F30014 1C52151A
	v_mfma_f32_16x16x32_fp8_fp8 v[20:23], a[28:29], a[12:13], v[20:23]// 000000003964: D3F30014 1C52191C
	buffer_load_dwordx4 a[72:75], v229, s[12:15], 0 offen offset:2048// 00000000396C: E05C1800 808348E5
	v_mfma_f32_16x16x32_fp8_fp8 v[20:23], a[30:31], a[14:15], v[20:23]// 000000003974: D3F30014 1C521D1E
	v_mfma_f32_16x16x32_fp8_fp8 v[24:27], a[32:33], a[8:9], 0  // 00000000397C: D3F30018 1A021120
	v_mfma_f32_16x16x32_fp8_fp8 v[24:27], a[34:35], a[10:11], v[24:27]// 000000003984: D3F30018 1C621522
	v_mfma_f32_16x16x32_fp8_fp8 v[24:27], a[36:37], a[12:13], v[24:27]// 00000000398C: D3F30018 1C621924
	buffer_load_dwordx4 a[76:79], v230, s[12:15], 0 offen offset:2048// 000000003994: E05C1800 80834CE6
	v_mfma_f32_16x16x32_fp8_fp8 v[24:27], a[38:39], a[14:15], v[24:27]// 00000000399C: D3F30018 1C621D26
	v_mfma_f32_16x16x32_fp8_fp8 v[28:31], a[40:41], a[8:9], 0  // 0000000039A4: D3F3001C 1A021128
	v_mfma_f32_16x16x32_fp8_fp8 v[28:31], a[42:43], a[10:11], v[28:31]// 0000000039AC: D3F3001C 1C72152A
	v_mfma_f32_16x16x32_fp8_fp8 v[28:31], a[44:45], a[12:13], v[28:31]// 0000000039B4: D3F3001C 1C72192C
	buffer_load_dwordx4 a[80:83], v229, s[12:15], 0 offen offset:3072// 0000000039BC: E05C1C00 808350E5
	v_mfma_f32_16x16x32_fp8_fp8 v[28:31], a[46:47], a[14:15], v[28:31]// 0000000039C4: D3F3001C 1C721D2E
	v_mfma_f32_16x16x32_fp8_fp8 v[32:35], a[48:49], a[8:9], 0  // 0000000039CC: D3F30020 1A021130
	v_mfma_f32_16x16x32_fp8_fp8 v[32:35], a[50:51], a[10:11], v[32:35]// 0000000039D4: D3F30020 1C821532
	v_mfma_f32_16x16x32_fp8_fp8 v[32:35], a[52:53], a[12:13], v[32:35]// 0000000039DC: D3F30020 1C821934
	buffer_load_dwordx4 a[84:87], v230, s[12:15], 0 offen offset:3072// 0000000039E4: E05C1C00 808354E6
	v_mfma_f32_16x16x32_fp8_fp8 v[32:35], a[54:55], a[14:15], v[32:35]// 0000000039EC: D3F30020 1C821D36
	v_mfma_f32_16x16x32_fp8_fp8 v[36:39], a[24:25], a[16:17], 0// 0000000039F4: D3F30024 1A022118
	v_mfma_f32_16x16x32_fp8_fp8 v[36:39], a[26:27], a[18:19], v[36:39]// 0000000039FC: D3F30024 1C92251A
	v_mfma_f32_16x16x32_fp8_fp8 v[36:39], a[28:29], a[20:21], v[36:39]// 000000003A04: D3F30024 1C92291C
	v_mfma_f32_16x16x32_fp8_fp8 v[36:39], a[30:31], a[22:23], v[36:39]// 000000003A0C: D3F30024 1C922D1E
	v_mfma_f32_16x16x32_fp8_fp8 v[40:43], a[32:33], a[16:17], 0// 000000003A14: D3F30028 1A022120
	v_mfma_f32_16x16x32_fp8_fp8 v[40:43], a[34:35], a[18:19], v[40:43]// 000000003A1C: D3F30028 1CA22522
	v_mfma_f32_16x16x32_fp8_fp8 v[40:43], a[36:37], a[20:21], v[40:43]// 000000003A24: D3F30028 1CA22924
	v_mfma_f32_16x16x32_fp8_fp8 v[40:43], a[38:39], a[22:23], v[40:43]// 000000003A2C: D3F30028 1CA22D26
	v_mfma_f32_16x16x32_fp8_fp8 v[44:47], a[40:41], a[16:17], 0// 000000003A34: D3F3002C 1A022128
	v_mfma_f32_16x16x32_fp8_fp8 v[44:47], a[42:43], a[18:19], v[44:47]// 000000003A3C: D3F3002C 1CB2252A
	v_mfma_f32_16x16x32_fp8_fp8 v[44:47], a[44:45], a[20:21], v[44:47]// 000000003A44: D3F3002C 1CB2292C
	v_mfma_f32_16x16x32_fp8_fp8 v[44:47], a[46:47], a[22:23], v[44:47]// 000000003A4C: D3F3002C 1CB22D2E
	v_mfma_f32_16x16x32_fp8_fp8 v[48:51], a[48:49], a[16:17], 0// 000000003A54: D3F30030 1A022130
	v_mfma_f32_16x16x32_fp8_fp8 v[48:51], a[50:51], a[18:19], v[48:51]// 000000003A5C: D3F30030 1CC22532
	v_mfma_f32_16x16x32_fp8_fp8 v[48:51], a[52:53], a[20:21], v[48:51]// 000000003A64: D3F30030 1CC22934
	v_mfma_f32_16x16x32_fp8_fp8 v[48:51], a[54:55], a[22:23], v[48:51]// 000000003A6C: D3F30030 1CC22D36
	s_waitcnt vmcnt(16)                                        // 000000003A74: BF8C4F70
	v_pk_mul_f32 v[4:5], v[148:149], v[4:5]                    // 000000003A78: D3B14004 18020994
	v_pk_mul_f32 v[6:7], v[148:149], v[6:7]                    // 000000003A80: D3B14006 18020D94
	v_mul_f32_dpp v4, v154, v4 row_newbcast:0 row_mask:0xf bank_mask:0xf// 000000003A88: 0A0808FA FF01509A
	v_mul_f32_dpp v5, v154, v5 row_newbcast:1 row_mask:0xf bank_mask:0xf// 000000003A90: 0A0A0AFA FF01519A
	v_mul_f32_dpp v6, v154, v6 row_newbcast:2 row_mask:0xf bank_mask:0xf// 000000003A98: 0A0C0CFA FF01529A
	v_mul_f32_dpp v7, v154, v7 row_newbcast:3 row_mask:0xf bank_mask:0xf// 000000003AA0: 0A0E0EFA FF01539A
	v_pk_mul_f32 v[8:9], v[148:149], v[8:9]                    // 000000003AA8: D3B14008 18021194
	v_pk_mul_f32 v[10:11], v[148:149], v[10:11]                // 000000003AB0: D3B1400A 18021594
	v_mul_f32_dpp v8, v154, v8 row_newbcast:4 row_mask:0xf bank_mask:0xf// 000000003AB8: 0A1010FA FF01549A
	v_mul_f32_dpp v9, v154, v9 row_newbcast:5 row_mask:0xf bank_mask:0xf// 000000003AC0: 0A1212FA FF01559A
	v_mul_f32_dpp v10, v154, v10 row_newbcast:6 row_mask:0xf bank_mask:0xf// 000000003AC8: 0A1414FA FF01569A
	v_mul_f32_dpp v11, v154, v11 row_newbcast:7 row_mask:0xf bank_mask:0xf// 000000003AD0: 0A1616FA FF01579A
	v_pk_mul_f32 v[12:13], v[148:149], v[12:13]                // 000000003AD8: D3B1400C 18021994
	v_pk_mul_f32 v[14:15], v[148:149], v[14:15]                // 000000003AE0: D3B1400E 18021D94
	v_mul_f32_dpp v12, v154, v12 row_newbcast:8 row_mask:0xf bank_mask:0xf// 000000003AE8: 0A1818FA FF01589A
	v_mul_f32_dpp v13, v154, v13 row_newbcast:9 row_mask:0xf bank_mask:0xf// 000000003AF0: 0A1A1AFA FF01599A
	v_mul_f32_dpp v14, v154, v14 row_newbcast:10 row_mask:0xf bank_mask:0xf// 000000003AF8: 0A1C1CFA FF015A9A
	v_mul_f32_dpp v15, v154, v15 row_newbcast:11 row_mask:0xf bank_mask:0xf// 000000003B00: 0A1E1EFA FF015B9A
	v_pk_mul_f32 v[16:17], v[148:149], v[16:17]                // 000000003B08: D3B14010 18022194
	v_pk_mul_f32 v[18:19], v[148:149], v[18:19]                // 000000003B10: D3B14012 18022594
	v_mul_f32_dpp v16, v154, v16 row_newbcast:12 row_mask:0xf bank_mask:0xf// 000000003B18: 0A2020FA FF015C9A
	v_mul_f32_dpp v17, v154, v17 row_newbcast:13 row_mask:0xf bank_mask:0xf// 000000003B20: 0A2222FA FF015D9A
	v_mul_f32_dpp v18, v154, v18 row_newbcast:14 row_mask:0xf bank_mask:0xf// 000000003B28: 0A2424FA FF015E9A
	v_mul_f32_dpp v19, v154, v19 row_newbcast:15 row_mask:0xf bank_mask:0xf// 000000003B30: 0A2626FA FF015F9A
	v_pk_mul_f32 v[20:21], v[150:151], v[20:21]                // 000000003B38: D3B14014 18022996
	v_pk_mul_f32 v[22:23], v[150:151], v[22:23]                // 000000003B40: D3B14016 18022D96
	v_mul_f32_dpp v20, v154, v20 row_newbcast:0 row_mask:0xf bank_mask:0xf// 000000003B48: 0A2828FA FF01509A
	v_mul_f32_dpp v21, v154, v21 row_newbcast:1 row_mask:0xf bank_mask:0xf// 000000003B50: 0A2A2AFA FF01519A
	v_mul_f32_dpp v22, v154, v22 row_newbcast:2 row_mask:0xf bank_mask:0xf// 000000003B58: 0A2C2CFA FF01529A
	v_mul_f32_dpp v23, v154, v23 row_newbcast:3 row_mask:0xf bank_mask:0xf// 000000003B60: 0A2E2EFA FF01539A
	v_pk_mul_f32 v[24:25], v[150:151], v[24:25]                // 000000003B68: D3B14018 18023196
	v_pk_mul_f32 v[26:27], v[150:151], v[26:27]                // 000000003B70: D3B1401A 18023596
	v_mul_f32_dpp v24, v154, v24 row_newbcast:4 row_mask:0xf bank_mask:0xf// 000000003B78: 0A3030FA FF01549A
	v_mul_f32_dpp v25, v154, v25 row_newbcast:5 row_mask:0xf bank_mask:0xf// 000000003B80: 0A3232FA FF01559A
	v_mul_f32_dpp v26, v154, v26 row_newbcast:6 row_mask:0xf bank_mask:0xf// 000000003B88: 0A3434FA FF01569A
	v_mul_f32_dpp v27, v154, v27 row_newbcast:7 row_mask:0xf bank_mask:0xf// 000000003B90: 0A3636FA FF01579A
	v_pk_mul_f32 v[28:29], v[150:151], v[28:29]                // 000000003B98: D3B1401C 18023996
	v_pk_mul_f32 v[30:31], v[150:151], v[30:31]                // 000000003BA0: D3B1401E 18023D96
	v_mul_f32_dpp v28, v154, v28 row_newbcast:8 row_mask:0xf bank_mask:0xf// 000000003BA8: 0A3838FA FF01589A
	v_mul_f32_dpp v29, v154, v29 row_newbcast:9 row_mask:0xf bank_mask:0xf// 000000003BB0: 0A3A3AFA FF01599A
	v_mul_f32_dpp v30, v154, v30 row_newbcast:10 row_mask:0xf bank_mask:0xf// 000000003BB8: 0A3C3CFA FF015A9A
	v_mul_f32_dpp v31, v154, v31 row_newbcast:11 row_mask:0xf bank_mask:0xf// 000000003BC0: 0A3E3EFA FF015B9A
	v_pk_mul_f32 v[32:33], v[150:151], v[32:33]                // 000000003BC8: D3B14020 18024196
	v_pk_mul_f32 v[34:35], v[150:151], v[34:35]                // 000000003BD0: D3B14022 18024596
	v_mul_f32_dpp v32, v154, v32 row_newbcast:12 row_mask:0xf bank_mask:0xf// 000000003BD8: 0A4040FA FF015C9A
	v_mul_f32_dpp v33, v154, v33 row_newbcast:13 row_mask:0xf bank_mask:0xf// 000000003BE0: 0A4242FA FF015D9A
	v_mul_f32_dpp v34, v154, v34 row_newbcast:14 row_mask:0xf bank_mask:0xf// 000000003BE8: 0A4444FA FF015E9A
	v_mul_f32_dpp v35, v154, v35 row_newbcast:15 row_mask:0xf bank_mask:0xf// 000000003BF0: 0A4646FA FF015F9A
	v_pk_mul_f32 v[36:37], v[152:153], v[36:37]                // 000000003BF8: D3B14024 18024998
	v_pk_mul_f32 v[38:39], v[152:153], v[38:39]                // 000000003C00: D3B14026 18024D98
	v_mul_f32_dpp v36, v154, v36 row_newbcast:0 row_mask:0xf bank_mask:0xf// 000000003C08: 0A4848FA FF01509A
	v_mul_f32_dpp v37, v154, v37 row_newbcast:1 row_mask:0xf bank_mask:0xf// 000000003C10: 0A4A4AFA FF01519A
	v_mul_f32_dpp v38, v154, v38 row_newbcast:2 row_mask:0xf bank_mask:0xf// 000000003C18: 0A4C4CFA FF01529A
	v_mul_f32_dpp v39, v154, v39 row_newbcast:3 row_mask:0xf bank_mask:0xf// 000000003C20: 0A4E4EFA FF01539A
	v_pk_mul_f32 v[40:41], v[152:153], v[40:41]                // 000000003C28: D3B14028 18025198
	v_pk_mul_f32 v[42:43], v[152:153], v[42:43]                // 000000003C30: D3B1402A 18025598
	v_mul_f32_dpp v40, v154, v40 row_newbcast:4 row_mask:0xf bank_mask:0xf// 000000003C38: 0A5050FA FF01549A
	v_mul_f32_dpp v41, v154, v41 row_newbcast:5 row_mask:0xf bank_mask:0xf// 000000003C40: 0A5252FA FF01559A
	v_mul_f32_dpp v42, v154, v42 row_newbcast:6 row_mask:0xf bank_mask:0xf// 000000003C48: 0A5454FA FF01569A
	v_mul_f32_dpp v43, v154, v43 row_newbcast:7 row_mask:0xf bank_mask:0xf// 000000003C50: 0A5656FA FF01579A
	v_pk_mul_f32 v[44:45], v[152:153], v[44:45]                // 000000003C58: D3B1402C 18025998
	v_pk_mul_f32 v[46:47], v[152:153], v[46:47]                // 000000003C60: D3B1402E 18025D98
	v_mul_f32_dpp v44, v154, v44 row_newbcast:8 row_mask:0xf bank_mask:0xf// 000000003C68: 0A5858FA FF01589A
	v_mul_f32_dpp v45, v154, v45 row_newbcast:9 row_mask:0xf bank_mask:0xf// 000000003C70: 0A5A5AFA FF01599A
	v_mul_f32_dpp v46, v154, v46 row_newbcast:10 row_mask:0xf bank_mask:0xf// 000000003C78: 0A5C5CFA FF015A9A
	v_mul_f32_dpp v47, v154, v47 row_newbcast:11 row_mask:0xf bank_mask:0xf// 000000003C80: 0A5E5EFA FF015B9A
	v_pk_mul_f32 v[48:49], v[152:153], v[48:49]                // 000000003C88: D3B14030 18026198
	v_pk_mul_f32 v[50:51], v[152:153], v[50:51]                // 000000003C90: D3B14032 18026598
	v_mul_f32_dpp v48, v154, v48 row_newbcast:12 row_mask:0xf bank_mask:0xf// 000000003C98: 0A6060FA FF015C9A
	v_mul_f32_dpp v49, v154, v49 row_newbcast:13 row_mask:0xf bank_mask:0xf// 000000003CA0: 0A6262FA FF015D9A
	v_mul_f32_dpp v50, v154, v50 row_newbcast:14 row_mask:0xf bank_mask:0xf// 000000003CA8: 0A6464FA FF015E9A
	v_mul_f32_dpp v51, v154, v51 row_newbcast:15 row_mask:0xf bank_mask:0xf// 000000003CB0: 0A6666FA FF015F9A
	v_mov_b32_e32 v182, v4                                     // 000000003CB8: 7F6C0304
	v_max3_f32 v182, v4, v5, v182                              // 000000003CBC: D1D300B6 06DA0B04
	v_max3_f32 v182, v6, v7, v182                              // 000000003CC4: D1D300B6 06DA0F06
	v_max3_f32 v182, v8, v9, v182                              // 000000003CCC: D1D300B6 06DA1308
	v_max3_f32 v182, v10, v11, v182                            // 000000003CD4: D1D300B6 06DA170A
	v_max3_f32 v182, v12, v13, v182                            // 000000003CDC: D1D300B6 06DA1B0C
	v_max3_f32 v182, v14, v15, v182                            // 000000003CE4: D1D300B6 06DA1F0E
	v_max3_f32 v182, v16, v17, v182                            // 000000003CEC: D1D300B6 06DA2310
	v_max3_f32 v182, v18, v19, v182                            // 000000003CF4: D1D300B6 06DA2712
	v_mov_b32_e32 v183, v20                                    // 000000003CFC: 7F6E0314
	v_max3_f32 v183, v20, v21, v183                            // 000000003D00: D1D300B7 06DE2B14
	v_max3_f32 v183, v22, v23, v183                            // 000000003D08: D1D300B7 06DE2F16
	v_max3_f32 v183, v24, v25, v183                            // 000000003D10: D1D300B7 06DE3318
	v_max3_f32 v183, v26, v27, v183                            // 000000003D18: D1D300B7 06DE371A
	v_max3_f32 v183, v28, v29, v183                            // 000000003D20: D1D300B7 06DE3B1C
	v_max3_f32 v183, v30, v31, v183                            // 000000003D28: D1D300B7 06DE3F1E
	v_max3_f32 v183, v32, v33, v183                            // 000000003D30: D1D300B7 06DE4320
	v_max3_f32 v183, v34, v35, v183                            // 000000003D38: D1D300B7 06DE4722
	v_mov_b32_e32 v184, v36                                    // 000000003D40: 7F700324
	v_max3_f32 v184, v36, v37, v184                            // 000000003D44: D1D300B8 06E24B24
	v_max3_f32 v184, v38, v39, v184                            // 000000003D4C: D1D300B8 06E24F26
	v_max3_f32 v184, v40, v41, v184                            // 000000003D54: D1D300B8 06E25328
	v_max3_f32 v184, v42, v43, v184                            // 000000003D5C: D1D300B8 06E2572A
	v_max3_f32 v184, v44, v45, v184                            // 000000003D64: D1D300B8 06E25B2C
	v_max3_f32 v184, v46, v47, v184                            // 000000003D6C: D1D300B8 06E25F2E
	v_max3_f32 v184, v48, v49, v184                            // 000000003D74: D1D300B8 06E26330
	v_max3_f32 v184, v50, v51, v184                            // 000000003D7C: D1D300B8 06E26732
	ds_bpermute_b32 v188, v208, v182                           // 000000003D84: D87E0000 BC00B6D0
	ds_bpermute_b32 v189, v209, v182                           // 000000003D8C: D87E0000 BD00B6D1
	ds_bpermute_b32 v190, v210, v182                           // 000000003D94: D87E0000 BE00B6D2
	ds_bpermute_b32 v191, v208, v183                           // 000000003D9C: D87E0000 BF00B7D0
	ds_bpermute_b32 v192, v209, v183                           // 000000003DA4: D87E0000 C000B7D1
	ds_bpermute_b32 v193, v210, v183                           // 000000003DAC: D87E0000 C100B7D2
	ds_bpermute_b32 v194, v208, v184                           // 000000003DB4: D87E0000 C200B8D0
	ds_bpermute_b32 v195, v209, v184                           // 000000003DBC: D87E0000 C300B8D1
	ds_bpermute_b32 v196, v210, v184                           // 000000003DC4: D87E0000 C400B8D2
	v_pk_mul_f32 v[124:125], v[170:171], v[124:125]            // 000000003DCC: D3B1407C 1802F9AA
	v_pk_mul_f32 v[126:127], v[170:171], v[126:127]            // 000000003DD4: D3B1407E 1802FDAA
	v_pk_mul_f32 v[128:129], v[170:171], v[128:129]            // 000000003DDC: D3B14080 180301AA
	v_pk_mul_f32 v[130:131], v[170:171], v[130:131]            // 000000003DE4: D3B14082 180305AA
	v_pk_mul_f32 v[132:133], v[172:173], v[132:133]            // 000000003DEC: D3B14084 180309AC
	v_pk_mul_f32 v[134:135], v[172:173], v[134:135]            // 000000003DF4: D3B14086 18030DAC
	v_pk_mul_f32 v[136:137], v[172:173], v[136:137]            // 000000003DFC: D3B14088 180311AC
	v_pk_mul_f32 v[138:139], v[172:173], v[138:139]            // 000000003E04: D3B1408A 180315AC
	v_pk_mul_f32 v[140:141], v[174:175], v[140:141]            // 000000003E0C: D3B1408C 180319AE
	v_pk_mul_f32 v[142:143], v[174:175], v[142:143]            // 000000003E14: D3B1408E 18031DAE
	v_pk_mul_f32 v[144:145], v[174:175], v[144:145]            // 000000003E1C: D3B14090 180321AE
	v_pk_mul_f32 v[146:147], v[174:175], v[146:147]            // 000000003E24: D3B14092 180325AE
	s_waitcnt lgkmcnt(6)                                       // 000000003E2C: BF8CC67F
	v_max3_f32 v182, v188, v189, v182                          // 000000003E30: D1D300B6 06DB7BBC
	v_max_f32_e32 v182, v190, v182                             // 000000003E38: 176D6DBE
	s_waitcnt lgkmcnt(3)                                       // 000000003E3C: BF8CC37F
	v_max3_f32 v183, v191, v192, v183                          // 000000003E40: D1D300B7 06DF81BF
	v_max_f32_e32 v183, v193, v183                             // 000000003E48: 176F6FC1
	s_waitcnt lgkmcnt(0)                                       // 000000003E4C: BF8CC07F
	v_max3_f32 v184, v194, v195, v184                          // 000000003E50: D1D300B8 06E387C2
	v_max_f32_e32 v184, v196, v184                             // 000000003E58: 177171C4
	ds_write_b128 v249, v[182:185]                             // 000000003E5C: D9BE0000 0000B6F9
	s_waitcnt lgkmcnt(0)                                       // 000000003E64: BF8CC07F
	s_barrier                                                  // 000000003E68: BF8A0000
	ds_read_b128 v[188:191], v250                              // 000000003E6C: D9FE0000 BC0000FA
	ds_read_b128 v[192:195], v250 offset:256                   // 000000003E74: D9FE0100 C00000FA
	ds_read_b128 v[196:199], v250 offset:512                   // 000000003E7C: D9FE0200 C40000FA
	ds_read_b128 v[200:203], v250 offset:768                   // 000000003E84: D9FE0300 C80000FA
	v_pk_mul_f32 v[100:101], v[158:159], v[100:101]            // 000000003E8C: D3B14064 1802C99E
	v_pk_mul_f32 v[102:103], v[158:159], v[102:103]            // 000000003E94: D3B14066 1802CD9E
	v_pk_mul_f32 v[104:105], v[158:159], v[104:105]            // 000000003E9C: D3B14068 1802D19E
	v_pk_mul_f32 v[106:107], v[158:159], v[106:107]            // 000000003EA4: D3B1406A 1802D59E
	v_pk_mul_f32 v[108:109], v[160:161], v[108:109]            // 000000003EAC: D3B1406C 1802D9A0
	v_pk_mul_f32 v[110:111], v[160:161], v[110:111]            // 000000003EB4: D3B1406E 1802DDA0
	v_pk_mul_f32 v[112:113], v[160:161], v[112:113]            // 000000003EBC: D3B14070 1802E1A0
	v_pk_mul_f32 v[114:115], v[160:161], v[114:115]            // 000000003EC4: D3B14072 1802E5A0
	v_pk_mul_f32 v[116:117], v[162:163], v[116:117]            // 000000003ECC: D3B14074 1802E9A2
	v_pk_mul_f32 v[118:119], v[162:163], v[118:119]            // 000000003ED4: D3B14076 1802EDA2
	v_pk_mul_f32 v[120:121], v[162:163], v[120:121]            // 000000003EDC: D3B14078 1802F1A2
	v_pk_mul_f32 v[122:123], v[162:163], v[122:123]            // 000000003EE4: D3B1407A 1802F5A2
	s_waitcnt lgkmcnt(0)                                       // 000000003EEC: BF8CC07F
	v_max3_f32 v182, v188, v192, v182                          // 000000003EF0: D1D300B6 06DB81BC
	v_max3_f32 v183, v189, v193, v183                          // 000000003EF8: D1D300B7 06DF83BD
	v_max3_f32 v184, v190, v194, v184                          // 000000003F00: D1D300B8 06E385BE
	v_max3_f32 v182, v196, v200, v182                          // 000000003F08: D1D300B6 06DB91C4
	v_max3_f32 v183, v197, v201, v183                          // 000000003F10: D1D300B7 06DF93C5
	v_max3_f32 v184, v198, v202, v184                          // 000000003F18: D1D300B8 06E395C6
	v_max_f32_e32 v167, v182, v164                             // 000000003F20: 174F49B6
	v_mul_f32_e64 v204, -s46, v167                             // 000000003F24: D10500CC 20034E2E
	v_mov_b32_e32 v205, v204                                   // 000000003F2C: 7F9A03CC
	v_pk_fma_f32 v[4:5], v[4:5], s[46:47], v[204:205]          // 000000003F30: D3B04004 1F305D04
	v_pk_fma_f32 v[6:7], v[6:7], s[46:47], v[204:205]          // 000000003F38: D3B04006 1F305D06
	v_exp_f32_e32 v4, v4                                       // 000000003F40: 7E084104
	v_exp_f32_e32 v5, v5                                       // 000000003F44: 7E0A4105
	v_exp_f32_e32 v6, v6                                       // 000000003F48: 7E0C4106
	v_exp_f32_e32 v7, v7                                       // 000000003F4C: 7E0E4107
	v_pk_fma_f32 v[8:9], v[8:9], s[46:47], v[204:205]          // 000000003F50: D3B04008 1F305D08
	v_pk_fma_f32 v[10:11], v[10:11], s[46:47], v[204:205]      // 000000003F58: D3B0400A 1F305D0A
	v_exp_f32_e32 v8, v8                                       // 000000003F60: 7E104108
	v_exp_f32_e32 v9, v9                                       // 000000003F64: 7E124109
	v_exp_f32_e32 v10, v10                                     // 000000003F68: 7E14410A
	v_exp_f32_e32 v11, v11                                     // 000000003F6C: 7E16410B
	v_pk_fma_f32 v[12:13], v[12:13], s[46:47], v[204:205]      // 000000003F70: D3B0400C 1F305D0C
	v_pk_fma_f32 v[14:15], v[14:15], s[46:47], v[204:205]      // 000000003F78: D3B0400E 1F305D0E
	v_exp_f32_e32 v12, v12                                     // 000000003F80: 7E18410C
	v_exp_f32_e32 v13, v13                                     // 000000003F84: 7E1A410D
	v_exp_f32_e32 v14, v14                                     // 000000003F88: 7E1C410E
	v_exp_f32_e32 v15, v15                                     // 000000003F8C: 7E1E410F
	v_pk_fma_f32 v[16:17], v[16:17], s[46:47], v[204:205]      // 000000003F90: D3B04010 1F305D10
	v_pk_fma_f32 v[18:19], v[18:19], s[46:47], v[204:205]      // 000000003F98: D3B04012 1F305D12
	v_exp_f32_e32 v16, v16                                     // 000000003FA0: 7E204110
	v_exp_f32_e32 v17, v17                                     // 000000003FA4: 7E224111
	v_exp_f32_e32 v18, v18                                     // 000000003FA8: 7E244112
	v_exp_f32_e32 v19, v19                                     // 000000003FAC: 7E264113
	v_max_f32_e32 v168, v183, v165                             // 000000003FB0: 17514BB7
	v_mul_f32_e64 v204, -s46, v168                             // 000000003FB4: D10500CC 2003502E
	v_mov_b32_e32 v205, v204                                   // 000000003FBC: 7F9A03CC
	v_pk_fma_f32 v[20:21], v[20:21], s[46:47], v[204:205]      // 000000003FC0: D3B04014 1F305D14
	v_pk_fma_f32 v[22:23], v[22:23], s[46:47], v[204:205]      // 000000003FC8: D3B04016 1F305D16
	v_exp_f32_e32 v20, v20                                     // 000000003FD0: 7E284114
	v_exp_f32_e32 v21, v21                                     // 000000003FD4: 7E2A4115
	v_exp_f32_e32 v22, v22                                     // 000000003FD8: 7E2C4116
	v_exp_f32_e32 v23, v23                                     // 000000003FDC: 7E2E4117
	v_pk_fma_f32 v[24:25], v[24:25], s[46:47], v[204:205]      // 000000003FE0: D3B04018 1F305D18
	v_pk_fma_f32 v[26:27], v[26:27], s[46:47], v[204:205]      // 000000003FE8: D3B0401A 1F305D1A
	v_exp_f32_e32 v24, v24                                     // 000000003FF0: 7E304118
	v_exp_f32_e32 v25, v25                                     // 000000003FF4: 7E324119
	v_exp_f32_e32 v26, v26                                     // 000000003FF8: 7E34411A
	v_exp_f32_e32 v27, v27                                     // 000000003FFC: 7E36411B
	v_pk_fma_f32 v[28:29], v[28:29], s[46:47], v[204:205]      // 000000004000: D3B0401C 1F305D1C
	v_pk_fma_f32 v[30:31], v[30:31], s[46:47], v[204:205]      // 000000004008: D3B0401E 1F305D1E
	v_exp_f32_e32 v28, v28                                     // 000000004010: 7E38411C
	v_exp_f32_e32 v29, v29                                     // 000000004014: 7E3A411D
	v_exp_f32_e32 v30, v30                                     // 000000004018: 7E3C411E
	v_exp_f32_e32 v31, v31                                     // 00000000401C: 7E3E411F
	v_pk_fma_f32 v[32:33], v[32:33], s[46:47], v[204:205]      // 000000004020: D3B04020 1F305D20
	v_pk_fma_f32 v[34:35], v[34:35], s[46:47], v[204:205]      // 000000004028: D3B04022 1F305D22
	v_exp_f32_e32 v32, v32                                     // 000000004030: 7E404120
	v_exp_f32_e32 v33, v33                                     // 000000004034: 7E424121
	v_exp_f32_e32 v34, v34                                     // 000000004038: 7E444122
	v_exp_f32_e32 v35, v35                                     // 00000000403C: 7E464123
	v_max_f32_e32 v169, v184, v166                             // 000000004040: 17534DB8
	v_mul_f32_e64 v204, -s46, v169                             // 000000004044: D10500CC 2003522E
	v_mov_b32_e32 v205, v204                                   // 00000000404C: 7F9A03CC
	v_pk_fma_f32 v[36:37], v[36:37], s[46:47], v[204:205]      // 000000004050: D3B04024 1F305D24
	v_pk_fma_f32 v[38:39], v[38:39], s[46:47], v[204:205]      // 000000004058: D3B04026 1F305D26
	v_exp_f32_e32 v36, v36                                     // 000000004060: 7E484124
	v_exp_f32_e32 v37, v37                                     // 000000004064: 7E4A4125
	v_exp_f32_e32 v38, v38                                     // 000000004068: 7E4C4126
	v_exp_f32_e32 v39, v39                                     // 00000000406C: 7E4E4127
	v_pk_fma_f32 v[40:41], v[40:41], s[46:47], v[204:205]      // 000000004070: D3B04028 1F305D28
	v_pk_fma_f32 v[42:43], v[42:43], s[46:47], v[204:205]      // 000000004078: D3B0402A 1F305D2A
	v_exp_f32_e32 v40, v40                                     // 000000004080: 7E504128
	v_exp_f32_e32 v41, v41                                     // 000000004084: 7E524129
	v_exp_f32_e32 v42, v42                                     // 000000004088: 7E54412A
	v_exp_f32_e32 v43, v43                                     // 00000000408C: 7E56412B
	v_pk_fma_f32 v[44:45], v[44:45], s[46:47], v[204:205]      // 000000004090: D3B0402C 1F305D2C
	v_pk_fma_f32 v[46:47], v[46:47], s[46:47], v[204:205]      // 000000004098: D3B0402E 1F305D2E
	v_exp_f32_e32 v44, v44                                     // 0000000040A0: 7E58412C
	v_exp_f32_e32 v45, v45                                     // 0000000040A4: 7E5A412D
	v_exp_f32_e32 v46, v46                                     // 0000000040A8: 7E5C412E
	v_exp_f32_e32 v47, v47                                     // 0000000040AC: 7E5E412F
	v_pk_fma_f32 v[48:49], v[48:49], s[46:47], v[204:205]      // 0000000040B0: D3B04030 1F305D30
	v_pk_fma_f32 v[50:51], v[50:51], s[46:47], v[204:205]      // 0000000040B8: D3B04032 1F305D32
	v_exp_f32_e32 v48, v48                                     // 0000000040C0: 7E604130
	v_exp_f32_e32 v49, v49                                     // 0000000040C4: 7E624131
	v_exp_f32_e32 v50, v50                                     // 0000000040C8: 7E644132
	v_exp_f32_e32 v51, v51                                     // 0000000040CC: 7E664133
	v_mul_f32_dpp v52, v156, v4 row_newbcast:0 row_mask:0xf bank_mask:0xf// 0000000040D0: 0A6808FA FF01509C
	v_mul_f32_dpp v53, v156, v5 row_newbcast:1 row_mask:0xf bank_mask:0xf// 0000000040D8: 0A6A0AFA FF01519C
	v_mul_f32_dpp v54, v156, v6 row_newbcast:2 row_mask:0xf bank_mask:0xf// 0000000040E0: 0A6C0CFA FF01529C
	v_mul_f32_dpp v55, v156, v7 row_newbcast:3 row_mask:0xf bank_mask:0xf// 0000000040E8: 0A6E0EFA FF01539C
	v_mul_f32_dpp v56, v156, v8 row_newbcast:4 row_mask:0xf bank_mask:0xf// 0000000040F0: 0A7010FA FF01549C
	v_mul_f32_dpp v57, v156, v9 row_newbcast:5 row_mask:0xf bank_mask:0xf// 0000000040F8: 0A7212FA FF01559C
	v_mul_f32_dpp v58, v156, v10 row_newbcast:6 row_mask:0xf bank_mask:0xf// 000000004100: 0A7414FA FF01569C
	v_mul_f32_dpp v59, v156, v11 row_newbcast:7 row_mask:0xf bank_mask:0xf// 000000004108: 0A7616FA FF01579C
	v_mul_f32_dpp v60, v156, v12 row_newbcast:8 row_mask:0xf bank_mask:0xf// 000000004110: 0A7818FA FF01589C
	v_mul_f32_dpp v61, v156, v13 row_newbcast:9 row_mask:0xf bank_mask:0xf// 000000004118: 0A7A1AFA FF01599C
	v_mul_f32_dpp v62, v156, v14 row_newbcast:10 row_mask:0xf bank_mask:0xf// 000000004120: 0A7C1CFA FF015A9C
	v_mul_f32_dpp v63, v156, v15 row_newbcast:11 row_mask:0xf bank_mask:0xf// 000000004128: 0A7E1EFA FF015B9C
	v_mul_f32_dpp v64, v156, v16 row_newbcast:12 row_mask:0xf bank_mask:0xf// 000000004130: 0A8020FA FF015C9C
	v_mul_f32_dpp v65, v156, v17 row_newbcast:13 row_mask:0xf bank_mask:0xf// 000000004138: 0A8222FA FF015D9C
	v_mul_f32_dpp v66, v156, v18 row_newbcast:14 row_mask:0xf bank_mask:0xf// 000000004140: 0A8424FA FF015E9C
	v_mul_f32_dpp v67, v156, v19 row_newbcast:15 row_mask:0xf bank_mask:0xf// 000000004148: 0A8626FA FF015F9C
	v_mul_f32_dpp v68, v156, v20 row_newbcast:0 row_mask:0xf bank_mask:0xf// 000000004150: 0A8828FA FF01509C
	v_mul_f32_dpp v69, v156, v21 row_newbcast:1 row_mask:0xf bank_mask:0xf// 000000004158: 0A8A2AFA FF01519C
	v_mul_f32_dpp v70, v156, v22 row_newbcast:2 row_mask:0xf bank_mask:0xf// 000000004160: 0A8C2CFA FF01529C
	v_mul_f32_dpp v71, v156, v23 row_newbcast:3 row_mask:0xf bank_mask:0xf// 000000004168: 0A8E2EFA FF01539C
	v_mul_f32_dpp v72, v156, v24 row_newbcast:4 row_mask:0xf bank_mask:0xf// 000000004170: 0A9030FA FF01549C
	v_mul_f32_dpp v73, v156, v25 row_newbcast:5 row_mask:0xf bank_mask:0xf// 000000004178: 0A9232FA FF01559C
	v_mul_f32_dpp v74, v156, v26 row_newbcast:6 row_mask:0xf bank_mask:0xf// 000000004180: 0A9434FA FF01569C
	v_mul_f32_dpp v75, v156, v27 row_newbcast:7 row_mask:0xf bank_mask:0xf// 000000004188: 0A9636FA FF01579C
	v_mul_f32_dpp v76, v156, v28 row_newbcast:8 row_mask:0xf bank_mask:0xf// 000000004190: 0A9838FA FF01589C
	v_mul_f32_dpp v77, v156, v29 row_newbcast:9 row_mask:0xf bank_mask:0xf// 000000004198: 0A9A3AFA FF01599C
	v_mul_f32_dpp v78, v156, v30 row_newbcast:10 row_mask:0xf bank_mask:0xf// 0000000041A0: 0A9C3CFA FF015A9C
	v_mul_f32_dpp v79, v156, v31 row_newbcast:11 row_mask:0xf bank_mask:0xf// 0000000041A8: 0A9E3EFA FF015B9C
	v_mul_f32_dpp v80, v156, v32 row_newbcast:12 row_mask:0xf bank_mask:0xf// 0000000041B0: 0AA040FA FF015C9C
	v_mul_f32_dpp v81, v156, v33 row_newbcast:13 row_mask:0xf bank_mask:0xf// 0000000041B8: 0AA242FA FF015D9C
	v_mul_f32_dpp v82, v156, v34 row_newbcast:14 row_mask:0xf bank_mask:0xf// 0000000041C0: 0AA444FA FF015E9C
	v_mul_f32_dpp v83, v156, v35 row_newbcast:15 row_mask:0xf bank_mask:0xf// 0000000041C8: 0AA646FA FF015F9C
	v_mul_f32_dpp v84, v156, v36 row_newbcast:0 row_mask:0xf bank_mask:0xf// 0000000041D0: 0AA848FA FF01509C
	v_mul_f32_dpp v85, v156, v37 row_newbcast:1 row_mask:0xf bank_mask:0xf// 0000000041D8: 0AAA4AFA FF01519C
	v_mul_f32_dpp v86, v156, v38 row_newbcast:2 row_mask:0xf bank_mask:0xf// 0000000041E0: 0AAC4CFA FF01529C
	v_mul_f32_dpp v87, v156, v39 row_newbcast:3 row_mask:0xf bank_mask:0xf// 0000000041E8: 0AAE4EFA FF01539C
	v_mul_f32_dpp v88, v156, v40 row_newbcast:4 row_mask:0xf bank_mask:0xf// 0000000041F0: 0AB050FA FF01549C
	v_mul_f32_dpp v89, v156, v41 row_newbcast:5 row_mask:0xf bank_mask:0xf// 0000000041F8: 0AB252FA FF01559C
	v_mul_f32_dpp v90, v156, v42 row_newbcast:6 row_mask:0xf bank_mask:0xf// 000000004200: 0AB454FA FF01569C
	v_mul_f32_dpp v91, v156, v43 row_newbcast:7 row_mask:0xf bank_mask:0xf// 000000004208: 0AB656FA FF01579C
	v_mul_f32_dpp v92, v156, v44 row_newbcast:8 row_mask:0xf bank_mask:0xf// 000000004210: 0AB858FA FF01589C
	v_mul_f32_dpp v93, v156, v45 row_newbcast:9 row_mask:0xf bank_mask:0xf// 000000004218: 0ABA5AFA FF01599C
	v_mul_f32_dpp v94, v156, v46 row_newbcast:10 row_mask:0xf bank_mask:0xf// 000000004220: 0ABC5CFA FF015A9C
	v_mul_f32_dpp v95, v156, v47 row_newbcast:11 row_mask:0xf bank_mask:0xf// 000000004228: 0ABE5EFA FF015B9C
	v_mul_f32_dpp v96, v156, v48 row_newbcast:12 row_mask:0xf bank_mask:0xf// 000000004230: 0AC060FA FF015C9C
	v_mul_f32_dpp v97, v156, v49 row_newbcast:13 row_mask:0xf bank_mask:0xf// 000000004238: 0AC262FA FF015D9C
	v_mul_f32_dpp v98, v156, v50 row_newbcast:14 row_mask:0xf bank_mask:0xf// 000000004240: 0AC464FA FF015E9C
	v_mul_f32_dpp v99, v156, v51 row_newbcast:15 row_mask:0xf bank_mask:0xf// 000000004248: 0AC666FA FF015F9C
	v_mov_b32_e32 v182, 0x358637bd                             // 000000004250: 7F6C02FF 358637BD
	v_max3_f32 v182, |v52|, |v53|, v182                        // 000000004258: D1D303B6 06DA6B34
	v_max3_f32 v182, |v54|, |v55|, v182                        // 000000004260: D1D303B6 06DA6F36
	v_max3_f32 v182, |v56|, |v57|, v182                        // 000000004268: D1D303B6 06DA7338
	v_max3_f32 v182, |v58|, |v59|, v182                        // 000000004270: D1D303B6 06DA773A
	v_max3_f32 v182, |v60|, |v61|, v182                        // 000000004278: D1D303B6 06DA7B3C
	v_max3_f32 v182, |v62|, |v63|, v182                        // 000000004280: D1D303B6 06DA7F3E
	v_max3_f32 v182, |v64|, |v65|, v182                        // 000000004288: D1D303B6 06DA8340
	v_max3_f32 v182, |v66|, |v67|, v182                        // 000000004290: D1D303B6 06DA8742
	v_mov_b32_e32 v183, 0x358637bd                             // 000000004298: 7F6E02FF 358637BD
	v_max3_f32 v183, |v68|, |v69|, v183                        // 0000000042A0: D1D303B7 06DE8B44
	v_max3_f32 v183, |v70|, |v71|, v183                        // 0000000042A8: D1D303B7 06DE8F46
	v_max3_f32 v183, |v72|, |v73|, v183                        // 0000000042B0: D1D303B7 06DE9348
	v_max3_f32 v183, |v74|, |v75|, v183                        // 0000000042B8: D1D303B7 06DE974A
	v_max3_f32 v183, |v76|, |v77|, v183                        // 0000000042C0: D1D303B7 06DE9B4C
	v_max3_f32 v183, |v78|, |v79|, v183                        // 0000000042C8: D1D303B7 06DE9F4E
	v_max3_f32 v183, |v80|, |v81|, v183                        // 0000000042D0: D1D303B7 06DEA350
	v_max3_f32 v183, |v82|, |v83|, v183                        // 0000000042D8: D1D303B7 06DEA752
	v_mov_b32_e32 v184, 0x358637bd                             // 0000000042E0: 7F7002FF 358637BD
	v_max3_f32 v184, |v84|, |v85|, v184                        // 0000000042E8: D1D303B8 06E2AB54
	v_max3_f32 v184, |v86|, |v87|, v184                        // 0000000042F0: D1D303B8 06E2AF56
	v_max3_f32 v184, |v88|, |v89|, v184                        // 0000000042F8: D1D303B8 06E2B358
	v_max3_f32 v184, |v90|, |v91|, v184                        // 000000004300: D1D303B8 06E2B75A
	v_max3_f32 v184, |v92|, |v93|, v184                        // 000000004308: D1D303B8 06E2BB5C
	v_max3_f32 v184, |v94|, |v95|, v184                        // 000000004310: D1D303B8 06E2BF5E
	v_max3_f32 v184, |v96|, |v97|, v184                        // 000000004318: D1D303B8 06E2C360
	v_max3_f32 v184, |v98|, |v99|, v184                        // 000000004320: D1D303B8 06E2C762
	ds_bpermute_b32 v188, v208, v182                           // 000000004328: D87E0000 BC00B6D0
	ds_bpermute_b32 v189, v209, v182                           // 000000004330: D87E0000 BD00B6D1
	ds_bpermute_b32 v190, v210, v182                           // 000000004338: D87E0000 BE00B6D2
	ds_bpermute_b32 v191, v208, v183                           // 000000004340: D87E0000 BF00B7D0
	ds_bpermute_b32 v192, v209, v183                           // 000000004348: D87E0000 C000B7D1
	ds_bpermute_b32 v193, v210, v183                           // 000000004350: D87E0000 C100B7D2
	ds_bpermute_b32 v194, v208, v184                           // 000000004358: D87E0000 C200B8D0
	ds_bpermute_b32 v195, v209, v184                           // 000000004360: D87E0000 C300B8D1
	ds_bpermute_b32 v196, v210, v184                           // 000000004368: D87E0000 C400B8D2
	s_waitcnt lgkmcnt(6)                                       // 000000004370: BF8CC67F
	v_max3_f32 v182, v188, v189, v182                          // 000000004374: D1D300B6 06DB7BBC
	v_max_f32_e32 v182, v190, v182                             // 00000000437C: 176D6DBE
	s_waitcnt lgkmcnt(3)                                       // 000000004380: BF8CC37F
	v_max3_f32 v183, v191, v192, v183                          // 000000004384: D1D300B7 06DF81BF
	v_max_f32_e32 v183, v193, v183                             // 00000000438C: 176F6FC1
	s_waitcnt lgkmcnt(0)                                       // 000000004390: BF8CC07F
	v_max3_f32 v184, v194, v195, v184                          // 000000004394: D1D300B8 06E387C2
	v_max_f32_e32 v184, v196, v184                             // 00000000439C: 177171C4
	ds_write_b128 v249, v[182:185] offset:4096                 // 0000000043A0: D9BE1000 0000B6F9
	buffer_load_dword v155, v235, s[20:23], 0 offen            // 0000000043A8: E0501000 80059BEB
	v_sub_f32_e32 v170, v164, v167                             // 0000000043B0: 05554FA4
	v_cmp_eq_u32_e64 s[98:99], v222, v164                      // 0000000043B4: D0CA0062 000349DE
	v_cndmask_b32_e64 v170, v170, 0, s[98:99]                  // 0000000043BC: D10000AA 018901AA
	v_mov_b32_e32 v164, v167                                   // 0000000043C4: 7F4803A7
	v_mul_f32_e32 v170, s46, v170                              // 0000000043C8: 0B55542E
	v_exp_f32_e32 v170, v170                                   // 0000000043CC: 7F5441AA
	v_sub_f32_e32 v172, v165, v168                             // 0000000043D0: 055951A5
	v_cmp_eq_u32_e64 s[98:99], v222, v165                      // 0000000043D4: D0CA0062 00034BDE
	v_cndmask_b32_e64 v172, v172, 0, s[98:99]                  // 0000000043DC: D10000AC 018901AC
	v_mov_b32_e32 v165, v168                                   // 0000000043E4: 7F4A03A8
	v_mul_f32_e32 v172, s46, v172                              // 0000000043E8: 0B59582E
	v_exp_f32_e32 v172, v172                                   // 0000000043EC: 7F5841AC
	v_sub_f32_e32 v174, v166, v169                             // 0000000043F0: 055D53A6
	v_cmp_eq_u32_e64 s[98:99], v222, v166                      // 0000000043F4: D0CA0062 00034DDE
	v_cndmask_b32_e64 v174, v174, 0, s[98:99]                  // 0000000043FC: D10000AE 018901AE
	v_mov_b32_e32 v166, v169                                   // 000000004404: 7F4C03A9
	v_mul_f32_e32 v174, s46, v174                              // 000000004408: 0B5D5C2E
	v_exp_f32_e32 v174, v174                                   // 00000000440C: 7F5C41AE
	v_mov_b32_e32 v171, v170                                   // 000000004410: 7F5603AA
	v_mov_b32_e32 v173, v172                                   // 000000004414: 7F5A03AC
	v_mov_b32_e32 v175, v174                                   // 000000004418: 7F5E03AE
	s_waitcnt lgkmcnt(0)                                       // 00000000441C: BF8CC07F
	s_barrier                                                  // 000000004420: BF8A0000
	ds_read_b128 v[188:191], v250 offset:4096                  // 000000004424: D9FE1000 BC0000FA
	ds_read_b128 v[192:195], v250 offset:4352                  // 00000000442C: D9FE1100 C00000FA
	ds_read_b128 v[196:199], v250 offset:4608                  // 000000004434: D9FE1200 C40000FA
	ds_read_b128 v[200:203], v250 offset:4864                  // 00000000443C: D9FE1300 C80000FA
	buffer_load_dword v157, v236, s[24:27], 0 offen            // 000000004444: E0501000 80069DEC
	v_mul_f32_e32 v176, v170, v176                             // 00000000444C: 0B6161AA
	v_mov_b32_e32 v177, 0                                      // 000000004450: 7F620280
	v_pk_add_f32 v[176:177], v[4:5], v[176:177]                // 000000004454: D3B240B0 18036104
	v_pk_add_f32 v[176:177], v[6:7], v[176:177]                // 00000000445C: D3B240B0 18036106
	v_pk_add_f32 v[176:177], v[8:9], v[176:177]                // 000000004464: D3B240B0 18036108
	v_pk_add_f32 v[176:177], v[10:11], v[176:177]              // 00000000446C: D3B240B0 1803610A
	v_pk_add_f32 v[176:177], v[12:13], v[176:177]              // 000000004474: D3B240B0 1803610C
	v_pk_add_f32 v[176:177], v[14:15], v[176:177]              // 00000000447C: D3B240B0 1803610E
	v_pk_add_f32 v[176:177], v[16:17], v[176:177]              // 000000004484: D3B240B0 18036110
	v_pk_add_f32 v[176:177], v[18:19], v[176:177]              // 00000000448C: D3B240B0 18036112
	v_add_f32_e32 v176, v177, v176                             // 000000004494: 036161B1
	v_mul_f32_e32 v178, v172, v178                             // 000000004498: 0B6565AC
	v_mov_b32_e32 v179, 0                                      // 00000000449C: 7F660280
	v_pk_add_f32 v[178:179], v[20:21], v[178:179]              // 0000000044A0: D3B240B2 18036514
	v_pk_add_f32 v[178:179], v[22:23], v[178:179]              // 0000000044A8: D3B240B2 18036516
	v_pk_add_f32 v[178:179], v[24:25], v[178:179]              // 0000000044B0: D3B240B2 18036518
	v_pk_add_f32 v[178:179], v[26:27], v[178:179]              // 0000000044B8: D3B240B2 1803651A
	v_pk_add_f32 v[178:179], v[28:29], v[178:179]              // 0000000044C0: D3B240B2 1803651C
	v_pk_add_f32 v[178:179], v[30:31], v[178:179]              // 0000000044C8: D3B240B2 1803651E
	v_pk_add_f32 v[178:179], v[32:33], v[178:179]              // 0000000044D0: D3B240B2 18036520
	v_pk_add_f32 v[178:179], v[34:35], v[178:179]              // 0000000044D8: D3B240B2 18036522
	v_add_f32_e32 v178, v179, v178                             // 0000000044E0: 036565B3
	v_mul_f32_e32 v180, v174, v180                             // 0000000044E4: 0B6969AE
	v_mov_b32_e32 v181, 0                                      // 0000000044E8: 7F6A0280
	v_pk_add_f32 v[180:181], v[36:37], v[180:181]              // 0000000044EC: D3B240B4 18036924
	v_pk_add_f32 v[180:181], v[38:39], v[180:181]              // 0000000044F4: D3B240B4 18036926
	v_pk_add_f32 v[180:181], v[40:41], v[180:181]              // 0000000044FC: D3B240B4 18036928
	v_pk_add_f32 v[180:181], v[42:43], v[180:181]              // 000000004504: D3B240B4 1803692A
	v_pk_add_f32 v[180:181], v[44:45], v[180:181]              // 00000000450C: D3B240B4 1803692C
	v_pk_add_f32 v[180:181], v[46:47], v[180:181]              // 000000004514: D3B240B4 1803692E
	v_pk_add_f32 v[180:181], v[48:49], v[180:181]              // 00000000451C: D3B240B4 18036930
	v_pk_add_f32 v[180:181], v[50:51], v[180:181]              // 000000004524: D3B240B4 18036932
	v_add_f32_e32 v180, v181, v180                             // 00000000452C: 036969B5
	s_waitcnt lgkmcnt(0)                                       // 000000004530: BF8CC07F
	v_max3_f32 v182, v188, v192, v182                          // 000000004534: D1D300B6 06DB81BC
	v_max3_f32 v183, v189, v193, v183                          // 00000000453C: D1D300B7 06DF83BD
	v_max3_f32 v184, v190, v194, v184                          // 000000004544: D1D300B8 06E385BE
	v_max3_f32 v182, v196, v200, v182                          // 00000000454C: D1D300B6 06DB91C4
	v_max3_f32 v183, v197, v201, v183                          // 000000004554: D1D300B7 06DF93C5
	v_max3_f32 v184, v198, v202, v184                          // 00000000455C: D1D300B8 06E395C6
	v_rcp_f32_e32 v182, v182                                   // 000000004564: 7F6C45B6
	v_rcp_f32_e32 v183, v183                                   // 000000004568: 7F6E45B7
	v_rcp_f32_e32 v184, v184                                   // 00000000456C: 7F7045B8
	v_mul_f32_e32 v182, 0x43700000, v182                       // 000000004570: 0B6D6CFF 43700000
	v_mul_f32_e32 v183, 0x43700000, v183                       // 000000004578: 0B6F6EFF 43700000
	v_mul_f32_e32 v184, 0x43700000, v184                       // 000000004580: 0B7170FF 43700000
	v_mov_b32_e32 v186, v184                                   // 000000004588: 7F7403B8
	v_mov_b32_e32 v187, v184                                   // 00000000458C: 7F7603B8
	v_mov_b32_e32 v184, v183                                   // 000000004590: 7F7003B7
	v_mov_b32_e32 v185, v183                                   // 000000004594: 7F7203B7
	v_mov_b32_e32 v183, v182                                   // 000000004598: 7F6E03B6
	v_pk_mul_f32 v[4:5], v[182:183], v[52:53]                  // 00000000459C: D3B14004 180269B6
	v_pk_mul_f32 v[6:7], v[182:183], v[54:55]                  // 0000000045A4: D3B14006 18026DB6
	v_pk_mul_f32 v[8:9], v[182:183], v[56:57]                  // 0000000045AC: D3B14008 180271B6
	v_pk_mul_f32 v[10:11], v[182:183], v[58:59]                // 0000000045B4: D3B1400A 180275B6
	v_pk_mul_f32 v[12:13], v[182:183], v[60:61]                // 0000000045BC: D3B1400C 180279B6
	v_pk_mul_f32 v[14:15], v[182:183], v[62:63]                // 0000000045C4: D3B1400E 18027DB6
	v_pk_mul_f32 v[16:17], v[182:183], v[64:65]                // 0000000045CC: D3B14010 180281B6
	v_pk_mul_f32 v[18:19], v[182:183], v[66:67]                // 0000000045D4: D3B14012 180285B6
	v_pk_mul_f32 v[20:21], v[184:185], v[68:69]                // 0000000045DC: D3B14014 180289B8
	v_pk_mul_f32 v[22:23], v[184:185], v[70:71]                // 0000000045E4: D3B14016 18028DB8
	v_pk_mul_f32 v[24:25], v[184:185], v[72:73]                // 0000000045EC: D3B14018 180291B8
	v_pk_mul_f32 v[26:27], v[184:185], v[74:75]                // 0000000045F4: D3B1401A 180295B8
	v_pk_mul_f32 v[28:29], v[184:185], v[76:77]                // 0000000045FC: D3B1401C 180299B8
	v_pk_mul_f32 v[30:31], v[184:185], v[78:79]                // 000000004604: D3B1401E 18029DB8
	v_pk_mul_f32 v[32:33], v[184:185], v[80:81]                // 00000000460C: D3B14020 1802A1B8
	v_pk_mul_f32 v[34:35], v[184:185], v[82:83]                // 000000004614: D3B14022 1802A5B8
	v_pk_mul_f32 v[36:37], v[186:187], v[84:85]                // 00000000461C: D3B14024 1802A9BA
	v_pk_mul_f32 v[38:39], v[186:187], v[86:87]                // 000000004624: D3B14026 1802ADBA
	v_pk_mul_f32 v[40:41], v[186:187], v[88:89]                // 00000000462C: D3B14028 1802B1BA
	v_pk_mul_f32 v[42:43], v[186:187], v[90:91]                // 000000004634: D3B1402A 1802B5BA
	v_pk_mul_f32 v[44:45], v[186:187], v[92:93]                // 00000000463C: D3B1402C 1802B9BA
	v_pk_mul_f32 v[46:47], v[186:187], v[94:95]                // 000000004644: D3B1402E 1802BDBA
	v_pk_mul_f32 v[48:49], v[186:187], v[96:97]                // 00000000464C: D3B14030 1802C1BA
	v_pk_mul_f32 v[50:51], v[186:187], v[98:99]                // 000000004654: D3B14032 1802C5BA
	v_cvt_pk_fp8_f32 v4, v4, v5                                // 00000000465C: D2A20004 00020B04
	v_cvt_pk_fp8_f32 v4, v6, v7 op_sel:[0,0,1]                 // 000000004664: D2A24004 00020F06
	v_cvt_pk_fp8_f32 v5, v8, v9                                // 00000000466C: D2A20005 00021308
	v_cvt_pk_fp8_f32 v5, v10, v11 op_sel:[0,0,1]               // 000000004674: D2A24005 0002170A
	v_cvt_pk_fp8_f32 v6, v12, v13                              // 00000000467C: D2A20006 00021B0C
	v_cvt_pk_fp8_f32 v6, v14, v15 op_sel:[0,0,1]               // 000000004684: D2A24006 00021F0E
	v_cvt_pk_fp8_f32 v7, v16, v17                              // 00000000468C: D2A20007 00022310
	v_cvt_pk_fp8_f32 v7, v18, v19 op_sel:[0,0,1]               // 000000004694: D2A24007 00022712
	v_cvt_pk_fp8_f32 v8, v20, v21                              // 00000000469C: D2A20008 00022B14
	v_cvt_pk_fp8_f32 v8, v22, v23 op_sel:[0,0,1]               // 0000000046A4: D2A24008 00022F16
	v_cvt_pk_fp8_f32 v9, v24, v25                              // 0000000046AC: D2A20009 00023318
	v_cvt_pk_fp8_f32 v9, v26, v27 op_sel:[0,0,1]               // 0000000046B4: D2A24009 0002371A
	v_cvt_pk_fp8_f32 v10, v28, v29                             // 0000000046BC: D2A2000A 00023B1C
	v_cvt_pk_fp8_f32 v10, v30, v31 op_sel:[0,0,1]              // 0000000046C4: D2A2400A 00023F1E
	v_cvt_pk_fp8_f32 v11, v32, v33                             // 0000000046CC: D2A2000B 00024320
	v_cvt_pk_fp8_f32 v11, v34, v35 op_sel:[0,0,1]              // 0000000046D4: D2A2400B 00024722
	v_cvt_pk_fp8_f32 v12, v36, v37                             // 0000000046DC: D2A2000C 00024B24
	v_cvt_pk_fp8_f32 v12, v38, v39 op_sel:[0,0,1]              // 0000000046E4: D2A2400C 00024F26
	v_cvt_pk_fp8_f32 v13, v40, v41                             // 0000000046EC: D2A2000D 00025328
	v_cvt_pk_fp8_f32 v13, v42, v43 op_sel:[0,0,1]              // 0000000046F4: D2A2400D 0002572A
	v_cvt_pk_fp8_f32 v14, v44, v45                             // 0000000046FC: D2A2000E 00025B2C
	v_cvt_pk_fp8_f32 v14, v46, v47 op_sel:[0,0,1]              // 000000004704: D2A2400E 00025F2E
	v_cvt_pk_fp8_f32 v15, v48, v49                             // 00000000470C: D2A2000F 00026330
	v_cvt_pk_fp8_f32 v15, v50, v51 op_sel:[0,0,1]              // 000000004714: D2A2400F 00026732
	ds_write_b32 v251, v4 offset:8192                          // 00000000471C: D81A2000 000004FB
	ds_write_b32 v251, v5 offset:9216                          // 000000004724: D81A2400 000005FB
	ds_write_b32 v251, v6 offset:10240                         // 00000000472C: D81A2800 000006FB
	ds_write_b32 v251, v7 offset:11264                         // 000000004734: D81A2C00 000007FB
	ds_write_b32 v251, v8 offset:12288                         // 00000000473C: D81A3000 000008FB
	ds_write_b32 v251, v9 offset:13312                         // 000000004744: D81A3400 000009FB
	ds_write_b32 v251, v10 offset:14336                        // 00000000474C: D81A3800 00000AFB
	ds_write_b32 v251, v11 offset:15360                        // 000000004754: D81A3C00 00000BFB
	ds_write_b32 v251, v12 offset:16384                        // 00000000475C: D81A4000 00000CFB
	ds_write_b32 v251, v13 offset:17408                        // 000000004764: D81A4400 00000DFB
	ds_write_b32 v251, v14 offset:18432                        // 00000000476C: D81A4800 00000EFB
	ds_write_b32 v251, v15 offset:19456                        // 000000004774: D81A4C00 00000FFB
	v_rcp_f32_e32 v158, v182                                   // 00000000477C: 7F3C45B6
	v_rcp_f32_e32 v160, v184                                   // 000000004780: 7F4045B8
	v_rcp_f32_e32 v162, v186                                   // 000000004784: 7F4445BA
	v_mov_b32_e32 v159, v158                                   // 000000004788: 7F3E039E
	v_mov_b32_e32 v161, v160                                   // 00000000478C: 7F4203A0
	v_mov_b32_e32 v163, v162                                   // 000000004790: 7F4603A2
	v_pk_add_f32 v[124:125], v[124:125], v[100:101]            // 000000004794: D3B2407C 1802C97C
	v_pk_add_f32 v[126:127], v[126:127], v[102:103]            // 00000000479C: D3B2407E 1802CD7E
	v_pk_add_f32 v[128:129], v[128:129], v[104:105]            // 0000000047A4: D3B24080 1802D180
	v_pk_add_f32 v[130:131], v[130:131], v[106:107]            // 0000000047AC: D3B24082 1802D582
	v_pk_add_f32 v[132:133], v[132:133], v[108:109]            // 0000000047B4: D3B24084 1802D984
	v_pk_add_f32 v[134:135], v[134:135], v[110:111]            // 0000000047BC: D3B24086 1802DD86
	v_pk_add_f32 v[136:137], v[136:137], v[112:113]            // 0000000047C4: D3B24088 1802E188
	v_pk_add_f32 v[138:139], v[138:139], v[114:115]            // 0000000047CC: D3B2408A 1802E58A
	v_pk_add_f32 v[140:141], v[140:141], v[116:117]            // 0000000047D4: D3B2408C 1802E98C
	v_pk_add_f32 v[142:143], v[142:143], v[118:119]            // 0000000047DC: D3B2408E 1802ED8E
	v_pk_add_f32 v[144:145], v[144:145], v[120:121]            // 0000000047E4: D3B24090 1802F190
	v_pk_add_f32 v[146:147], v[146:147], v[122:123]            // 0000000047EC: D3B24092 1802F592
	s_waitcnt lgkmcnt(0)                                       // 0000000047F4: BF8CC07F
	s_barrier                                                  // 0000000047F8: BF8A0000
	ds_read_b128 v[4:7], v252 offset:8192                      // 0000000047FC: D9FE2000 040000FC
	ds_read_b128 v[8:11], v252 offset:9216                     // 000000004804: D9FE2400 080000FC
	ds_read_b128 v[12:15], v252 offset:10240                   // 00000000480C: D9FE2800 0C0000FC
	ds_read_b128 v[16:19], v252 offset:11264                   // 000000004814: D9FE2C00 100000FC
	ds_read_b128 v[20:23], v252 offset:12288                   // 00000000481C: D9FE3000 140000FC
	ds_read_b128 v[24:27], v252 offset:13312                   // 000000004824: D9FE3400 180000FC
	ds_read_b128 v[28:31], v252 offset:14336                   // 00000000482C: D9FE3800 1C0000FC
	ds_read_b128 v[32:35], v252 offset:15360                   // 000000004834: D9FE3C00 200000FC
	ds_read_b128 v[36:39], v252 offset:16384                   // 00000000483C: D9FE4000 240000FC
	ds_read_b128 v[40:43], v252 offset:17408                   // 000000004844: D9FE4400 280000FC
	ds_read_b128 v[44:47], v252 offset:18432                   // 00000000484C: D9FE4800 2C0000FC
	ds_read_b128 v[48:51], v252 offset:19456                   // 000000004854: D9FE4C00 300000FC
	s_waitcnt vmcnt(10)                                        // 00000000485C: BF8C0F7A
	s_waitcnt lgkmcnt(11)                                      // 000000004860: BF8CCB7F
	v_mfma_f32_16x16x32_fp8_fp8 v[100:103], a[88:89], v[4:5], 0// 000000004864: D3F30064 0A020958
	s_lshl_b32 s68, s76, 2                                     // 00000000486C: 8E44824C
	v_mfma_f32_16x16x32_fp8_fp8 v[104:107], a[104:105], v[4:5], 0// 000000004870: D3F30068 0A020968
	s_cmp_lt_u32 s76, s77                                      // 000000004878: BF0A4D4C
	s_cselect_b32 s68, s68, 0                                  // 00000000487C: 85448044
	v_mfma_f32_16x16x32_fp8_fp8 v[100:103], a[90:91], v[6:7], v[100:103]// 000000004880: D3F30064 0D920D5A
	buffer_load_dwordx4 a[120:123], v231, s[16:19], 0 offen    // 000000004888: E05C1000 808478E7
	v_mfma_f32_16x16x32_fp8_fp8 v[104:107], a[106:107], v[6:7], v[104:107]// 000000004890: D3F30068 0DA20D6A
	s_addk_i32 s76, 0x1                                        // 000000004898: B74C0001
	s_waitcnt lgkmcnt(10)                                      // 00000000489C: BF8CCA7F
	v_mfma_f32_16x16x32_fp8_fp8 v[100:103], a[92:93], v[8:9], v[100:103]// 0000000048A0: D3F30064 0D92115C
	v_mfma_f32_16x16x32_fp8_fp8 v[104:107], a[108:109], v[8:9], v[104:107]// 0000000048A8: D3F30068 0DA2116C
	v_mfma_f32_16x16x32_fp8_fp8 v[100:103], a[94:95], v[10:11], v[100:103]// 0000000048B0: D3F30064 0D92155E
	buffer_load_dwordx4 a[124:127], v232, s[16:19], 0 offen    // 0000000048B8: E05C1000 80847CE8
	v_mfma_f32_16x16x32_fp8_fp8 v[104:107], a[110:111], v[10:11], v[104:107]// 0000000048C0: D3F30068 0DA2156E
	s_waitcnt lgkmcnt(9)                                       // 0000000048C8: BF8CC97F
	v_mfma_f32_16x16x32_fp8_fp8 v[100:103], a[96:97], v[12:13], v[100:103]// 0000000048CC: D3F30064 0D921960
	v_mfma_f32_16x16x32_fp8_fp8 v[104:107], a[112:113], v[12:13], v[104:107]// 0000000048D4: D3F30068 0DA21970
	v_mfma_f32_16x16x32_fp8_fp8 v[100:103], a[98:99], v[14:15], v[100:103]// 0000000048DC: D3F30064 0D921D62
	buffer_load_dwordx4 a[128:131], v233, s[16:19], 0 offen    // 0000000048E4: E05C1000 808480E9
	v_mfma_f32_16x16x32_fp8_fp8 v[104:107], a[114:115], v[14:15], v[104:107]// 0000000048EC: D3F30068 0DA21D72
	s_waitcnt lgkmcnt(8)                                       // 0000000048F4: BF8CC87F
	v_mfma_f32_16x16x32_fp8_fp8 v[100:103], a[100:101], v[16:17], v[100:103]// 0000000048F8: D3F30064 0D922164
	v_mfma_f32_16x16x32_fp8_fp8 v[104:107], a[116:117], v[16:17], v[104:107]// 000000004900: D3F30068 0DA22174
	v_mfma_f32_16x16x32_fp8_fp8 v[100:103], a[102:103], v[18:19], v[100:103]// 000000004908: D3F30064 0D922566
	buffer_load_dwordx4 a[132:135], v234, s[16:19], 0 offen    // 000000004910: E05C1000 808484EA
	v_mfma_f32_16x16x32_fp8_fp8 v[104:107], a[118:119], v[18:19], v[104:107]// 000000004918: D3F30068 0DA22576
	s_waitcnt lgkmcnt(7)                                       // 000000004920: BF8CC77F
	v_mfma_f32_16x16x32_fp8_fp8 v[108:111], a[88:89], v[20:21], 0// 000000004924: D3F3006C 0A022958
	v_mfma_f32_16x16x32_fp8_fp8 v[112:115], a[104:105], v[20:21], 0// 00000000492C: D3F30070 0A022968
	v_mfma_f32_16x16x32_fp8_fp8 v[108:111], a[90:91], v[22:23], v[108:111]// 000000004934: D3F3006C 0DB22D5A
	buffer_load_dwordx4 a[136:139], v231, s[16:19], 0 offen offset:1024// 00000000493C: E05C1400 808488E7
	v_mfma_f32_16x16x32_fp8_fp8 v[112:115], a[106:107], v[22:23], v[112:115]// 000000004944: D3F30070 0DC22D6A
	s_waitcnt lgkmcnt(6)                                       // 00000000494C: BF8CC67F
	v_mfma_f32_16x16x32_fp8_fp8 v[108:111], a[92:93], v[24:25], v[108:111]// 000000004950: D3F3006C 0DB2315C
	v_mfma_f32_16x16x32_fp8_fp8 v[112:115], a[108:109], v[24:25], v[112:115]// 000000004958: D3F30070 0DC2316C
	v_mfma_f32_16x16x32_fp8_fp8 v[108:111], a[94:95], v[26:27], v[108:111]// 000000004960: D3F3006C 0DB2355E
	buffer_load_dwordx4 a[140:143], v232, s[16:19], 0 offen offset:1024// 000000004968: E05C1400 80848CE8
	v_mfma_f32_16x16x32_fp8_fp8 v[112:115], a[110:111], v[26:27], v[112:115]// 000000004970: D3F30070 0DC2356E
	s_waitcnt lgkmcnt(5)                                       // 000000004978: BF8CC57F
	v_mfma_f32_16x16x32_fp8_fp8 v[108:111], a[96:97], v[28:29], v[108:111]// 00000000497C: D3F3006C 0DB23960
	v_mfma_f32_16x16x32_fp8_fp8 v[112:115], a[112:113], v[28:29], v[112:115]// 000000004984: D3F30070 0DC23970
	v_mfma_f32_16x16x32_fp8_fp8 v[108:111], a[98:99], v[30:31], v[108:111]// 00000000498C: D3F3006C 0DB23D62
	buffer_load_dwordx4 a[144:147], v233, s[16:19], 0 offen offset:1024// 000000004994: E05C1400 808490E9
	v_mfma_f32_16x16x32_fp8_fp8 v[112:115], a[114:115], v[30:31], v[112:115]// 00000000499C: D3F30070 0DC23D72
	s_waitcnt lgkmcnt(4)                                       // 0000000049A4: BF8CC47F
	v_mfma_f32_16x16x32_fp8_fp8 v[108:111], a[100:101], v[32:33], v[108:111]// 0000000049A8: D3F3006C 0DB24164
	v_mfma_f32_16x16x32_fp8_fp8 v[112:115], a[116:117], v[32:33], v[112:115]// 0000000049B0: D3F30070 0DC24174
	v_mfma_f32_16x16x32_fp8_fp8 v[108:111], a[102:103], v[34:35], v[108:111]// 0000000049B8: D3F3006C 0DB24566
	buffer_load_dwordx4 a[148:151], v234, s[16:19], 0 offen offset:1024// 0000000049C0: E05C1400 808494EA
	v_mfma_f32_16x16x32_fp8_fp8 v[112:115], a[118:119], v[34:35], v[112:115]// 0000000049C8: D3F30070 0DC24576
	s_waitcnt lgkmcnt(3)                                       // 0000000049D0: BF8CC37F
	v_mfma_f32_16x16x32_fp8_fp8 v[116:119], a[88:89], v[36:37], 0// 0000000049D4: D3F30074 0A024958
	v_mfma_f32_16x16x32_fp8_fp8 v[120:123], a[104:105], v[36:37], 0// 0000000049DC: D3F30078 0A024968
	v_mfma_f32_16x16x32_fp8_fp8 v[116:119], a[90:91], v[38:39], v[116:119]// 0000000049E4: D3F30074 0DD24D5A
	v_mfma_f32_16x16x32_fp8_fp8 v[120:123], a[106:107], v[38:39], v[120:123]// 0000000049EC: D3F30078 0DE24D6A
	s_waitcnt lgkmcnt(2)                                       // 0000000049F4: BF8CC27F
	v_mfma_f32_16x16x32_fp8_fp8 v[116:119], a[92:93], v[40:41], v[116:119]// 0000000049F8: D3F30074 0DD2515C
	v_mfma_f32_16x16x32_fp8_fp8 v[120:123], a[108:109], v[40:41], v[120:123]// 000000004A00: D3F30078 0DE2516C
	v_mfma_f32_16x16x32_fp8_fp8 v[116:119], a[94:95], v[42:43], v[116:119]// 000000004A08: D3F30074 0DD2555E
	v_mfma_f32_16x16x32_fp8_fp8 v[120:123], a[110:111], v[42:43], v[120:123]// 000000004A10: D3F30078 0DE2556E
	s_waitcnt lgkmcnt(1)                                       // 000000004A18: BF8CC17F
	v_mfma_f32_16x16x32_fp8_fp8 v[116:119], a[96:97], v[44:45], v[116:119]// 000000004A1C: D3F30074 0DD25960
	v_mfma_f32_16x16x32_fp8_fp8 v[120:123], a[112:113], v[44:45], v[120:123]// 000000004A24: D3F30078 0DE25970
	v_mfma_f32_16x16x32_fp8_fp8 v[116:119], a[98:99], v[46:47], v[116:119]// 000000004A2C: D3F30074 0DD25D62
	v_mfma_f32_16x16x32_fp8_fp8 v[120:123], a[114:115], v[46:47], v[120:123]// 000000004A34: D3F30078 0DE25D72
	s_waitcnt lgkmcnt(0)                                       // 000000004A3C: BF8CC07F
	v_mfma_f32_16x16x32_fp8_fp8 v[116:119], a[100:101], v[48:49], v[116:119]// 000000004A40: D3F30074 0DD26164
	v_mfma_f32_16x16x32_fp8_fp8 v[120:123], a[116:117], v[48:49], v[120:123]// 000000004A48: D3F30078 0DE26174
	v_mfma_f32_16x16x32_fp8_fp8 v[116:119], a[102:103], v[50:51], v[116:119]// 000000004A50: D3F30074 0DD26566
	v_mfma_f32_16x16x32_fp8_fp8 v[120:123], a[118:119], v[50:51], v[120:123]// 000000004A58: D3F30078 0DE26576
	s_load_dword s59, s[42:43], s68                            // 000000004A60: C0000ED5 00000044
	s_addk_i32 s64, 0x100                                      // 000000004A68: B7400100
	s_cmp_lt_i32 s64, s63                                      // 000000004A6C: BF043F40
	s_cbranch_scc0 label_2F92                                  // 000000004A70: BF8426F5
	s_waitcnt vmcnt(10)                                        // 000000004A74: BF8C0F7A
	v_mfma_f32_16x16x32_fp8_fp8 v[4:7], a[56:57], a[0:1], 0    // 000000004A78: D3F30004 1A020138
	s_add_u32 s12, s86, s69                                    // 000000004A80: 800C4556
	s_addc_u32 s13, s87, 0                                     // 000000004A84: 820D8057
	v_mfma_f32_16x16x32_fp8_fp8 v[4:7], a[58:59], a[2:3], v[4:7]// 000000004A88: D3F30004 1C12053A
	s_add_u32 s16, s88, s70                                    // 000000004A90: 80104658
	s_addc_u32 s17, s89, 0                                     // 000000004A94: 82118059
	v_mfma_f32_16x16x32_fp8_fp8 v[4:7], a[60:61], a[4:5], v[4:7]// 000000004A98: D3F30004 1C12093C
	buffer_load_dwordx4 a[24:27], v229, s[12:15], 0 offen      // 000000004AA0: E05C1000 808318E5
	v_mfma_f32_16x16x32_fp8_fp8 v[4:7], a[62:63], a[6:7], v[4:7]// 000000004AA8: D3F30004 1C120D3E
	s_add_u32 s20, s90, s71                                    // 000000004AB0: 8014475A
	s_addc_u32 s21, s91, 0                                     // 000000004AB4: 8215805B
	v_mfma_f32_16x16x32_fp8_fp8 v[8:11], a[64:65], a[0:1], 0   // 000000004AB8: D3F30008 1A020140
	s_add_u32 s24, s92, s71                                    // 000000004AC0: 8018475C
	s_addc_u32 s25, s93, 0                                     // 000000004AC4: 8219805D
	v_mfma_f32_16x16x32_fp8_fp8 v[8:11], a[66:67], a[2:3], v[8:11]// 000000004AC8: D3F30008 1C220542
	s_add_u32 s69, s69, 0x1000                                 // 000000004AD0: 8045FF45 00001000
	s_add_u32 s70, s70, 0x8000                                 // 000000004AD8: 8046FF46 00008000
	v_mfma_f32_16x16x32_fp8_fp8 v[8:11], a[68:69], a[4:5], v[8:11]// 000000004AE0: D3F30008 1C220944
	buffer_load_dwordx4 a[28:31], v230, s[12:15], 0 offen      // 000000004AE8: E05C1000 80831CE6
	v_mfma_f32_16x16x32_fp8_fp8 v[8:11], a[70:71], a[6:7], v[8:11]// 000000004AF0: D3F30008 1C220D46
	s_add_u32 s71, s71, 0x400                                  // 000000004AF8: 8047FF47 00000400
	v_mfma_f32_16x16x32_fp8_fp8 v[12:15], a[72:73], a[0:1], 0  // 000000004B00: D3F3000C 1A020148
	v_mfma_f32_16x16x32_fp8_fp8 v[12:15], a[74:75], a[2:3], v[12:15]// 000000004B08: D3F3000C 1C32054A
	v_mfma_f32_16x16x32_fp8_fp8 v[12:15], a[76:77], a[4:5], v[12:15]// 000000004B10: D3F3000C 1C32094C
	buffer_load_dwordx4 a[32:35], v229, s[12:15], 0 offen offset:1024// 000000004B18: E05C1400 808320E5
	v_mfma_f32_16x16x32_fp8_fp8 v[12:15], a[78:79], a[6:7], v[12:15]// 000000004B20: D3F3000C 1C320D4E
	v_mfma_f32_16x16x32_fp8_fp8 v[16:19], a[80:81], a[0:1], 0  // 000000004B28: D3F30010 1A020150
	v_mfma_f32_16x16x32_fp8_fp8 v[16:19], a[82:83], a[2:3], v[16:19]// 000000004B30: D3F30010 1C420552
	v_mfma_f32_16x16x32_fp8_fp8 v[16:19], a[84:85], a[4:5], v[16:19]// 000000004B38: D3F30010 1C420954
	buffer_load_dwordx4 a[36:39], v230, s[12:15], 0 offen offset:1024// 000000004B40: E05C1400 808324E6
	v_mfma_f32_16x16x32_fp8_fp8 v[16:19], a[86:87], a[6:7], v[16:19]// 000000004B48: D3F30010 1C420D56
	v_mfma_f32_16x16x32_fp8_fp8 v[20:23], a[56:57], a[8:9], 0  // 000000004B50: D3F30014 1A021138
	v_mfma_f32_16x16x32_fp8_fp8 v[20:23], a[58:59], a[10:11], v[20:23]// 000000004B58: D3F30014 1C52153A
	v_mfma_f32_16x16x32_fp8_fp8 v[20:23], a[60:61], a[12:13], v[20:23]// 000000004B60: D3F30014 1C52193C
	buffer_load_dwordx4 a[40:43], v229, s[12:15], 0 offen offset:2048// 000000004B68: E05C1800 808328E5
	v_mfma_f32_16x16x32_fp8_fp8 v[20:23], a[62:63], a[14:15], v[20:23]// 000000004B70: D3F30014 1C521D3E
	v_mfma_f32_16x16x32_fp8_fp8 v[24:27], a[64:65], a[8:9], 0  // 000000004B78: D3F30018 1A021140
	v_mfma_f32_16x16x32_fp8_fp8 v[24:27], a[66:67], a[10:11], v[24:27]// 000000004B80: D3F30018 1C621542
	v_mfma_f32_16x16x32_fp8_fp8 v[24:27], a[68:69], a[12:13], v[24:27]// 000000004B88: D3F30018 1C621944
	buffer_load_dwordx4 a[44:47], v230, s[12:15], 0 offen offset:2048// 000000004B90: E05C1800 80832CE6
	v_mfma_f32_16x16x32_fp8_fp8 v[24:27], a[70:71], a[14:15], v[24:27]// 000000004B98: D3F30018 1C621D46
	v_mfma_f32_16x16x32_fp8_fp8 v[28:31], a[72:73], a[8:9], 0  // 000000004BA0: D3F3001C 1A021148
	v_mfma_f32_16x16x32_fp8_fp8 v[28:31], a[74:75], a[10:11], v[28:31]// 000000004BA8: D3F3001C 1C72154A
	v_mfma_f32_16x16x32_fp8_fp8 v[28:31], a[76:77], a[12:13], v[28:31]// 000000004BB0: D3F3001C 1C72194C
	buffer_load_dwordx4 a[48:51], v229, s[12:15], 0 offen offset:3072// 000000004BB8: E05C1C00 808330E5
	v_mfma_f32_16x16x32_fp8_fp8 v[28:31], a[78:79], a[14:15], v[28:31]// 000000004BC0: D3F3001C 1C721D4E
	v_mfma_f32_16x16x32_fp8_fp8 v[32:35], a[80:81], a[8:9], 0  // 000000004BC8: D3F30020 1A021150
	v_mfma_f32_16x16x32_fp8_fp8 v[32:35], a[82:83], a[10:11], v[32:35]// 000000004BD0: D3F30020 1C821552
	v_mfma_f32_16x16x32_fp8_fp8 v[32:35], a[84:85], a[12:13], v[32:35]// 000000004BD8: D3F30020 1C821954
	buffer_load_dwordx4 a[52:55], v230, s[12:15], 0 offen offset:3072// 000000004BE0: E05C1C00 808334E6
	v_mfma_f32_16x16x32_fp8_fp8 v[32:35], a[86:87], a[14:15], v[32:35]// 000000004BE8: D3F30020 1C821D56
	v_mfma_f32_16x16x32_fp8_fp8 v[36:39], a[56:57], a[16:17], 0// 000000004BF0: D3F30024 1A022138
	v_mfma_f32_16x16x32_fp8_fp8 v[36:39], a[58:59], a[18:19], v[36:39]// 000000004BF8: D3F30024 1C92253A
	v_mfma_f32_16x16x32_fp8_fp8 v[36:39], a[60:61], a[20:21], v[36:39]// 000000004C00: D3F30024 1C92293C
	v_mfma_f32_16x16x32_fp8_fp8 v[36:39], a[62:63], a[22:23], v[36:39]// 000000004C08: D3F30024 1C922D3E
	v_mfma_f32_16x16x32_fp8_fp8 v[40:43], a[64:65], a[16:17], 0// 000000004C10: D3F30028 1A022140
	v_mfma_f32_16x16x32_fp8_fp8 v[40:43], a[66:67], a[18:19], v[40:43]// 000000004C18: D3F30028 1CA22542
	v_mfma_f32_16x16x32_fp8_fp8 v[40:43], a[68:69], a[20:21], v[40:43]// 000000004C20: D3F30028 1CA22944
	v_mfma_f32_16x16x32_fp8_fp8 v[40:43], a[70:71], a[22:23], v[40:43]// 000000004C28: D3F30028 1CA22D46
	v_mfma_f32_16x16x32_fp8_fp8 v[44:47], a[72:73], a[16:17], 0// 000000004C30: D3F3002C 1A022148
	v_mfma_f32_16x16x32_fp8_fp8 v[44:47], a[74:75], a[18:19], v[44:47]// 000000004C38: D3F3002C 1CB2254A
	v_mfma_f32_16x16x32_fp8_fp8 v[44:47], a[76:77], a[20:21], v[44:47]// 000000004C40: D3F3002C 1CB2294C
	v_mfma_f32_16x16x32_fp8_fp8 v[44:47], a[78:79], a[22:23], v[44:47]// 000000004C48: D3F3002C 1CB22D4E
	v_mfma_f32_16x16x32_fp8_fp8 v[48:51], a[80:81], a[16:17], 0// 000000004C50: D3F30030 1A022150
	v_mfma_f32_16x16x32_fp8_fp8 v[48:51], a[82:83], a[18:19], v[48:51]// 000000004C58: D3F30030 1CC22552
	v_mfma_f32_16x16x32_fp8_fp8 v[48:51], a[84:85], a[20:21], v[48:51]// 000000004C60: D3F30030 1CC22954
	v_mfma_f32_16x16x32_fp8_fp8 v[48:51], a[86:87], a[22:23], v[48:51]// 000000004C68: D3F30030 1CC22D56
	s_waitcnt vmcnt(16)                                        // 000000004C70: BF8C4F70
	v_pk_mul_f32 v[4:5], v[148:149], v[4:5]                    // 000000004C74: D3B14004 18020994
	v_pk_mul_f32 v[6:7], v[148:149], v[6:7]                    // 000000004C7C: D3B14006 18020D94
	v_mul_f32_dpp v4, v155, v4 row_newbcast:0 row_mask:0xf bank_mask:0xf// 000000004C84: 0A0808FA FF01509B
	v_mul_f32_dpp v5, v155, v5 row_newbcast:1 row_mask:0xf bank_mask:0xf// 000000004C8C: 0A0A0AFA FF01519B
	v_mul_f32_dpp v6, v155, v6 row_newbcast:2 row_mask:0xf bank_mask:0xf// 000000004C94: 0A0C0CFA FF01529B
	v_mul_f32_dpp v7, v155, v7 row_newbcast:3 row_mask:0xf bank_mask:0xf// 000000004C9C: 0A0E0EFA FF01539B
	v_pk_mul_f32 v[8:9], v[148:149], v[8:9]                    // 000000004CA4: D3B14008 18021194
	v_pk_mul_f32 v[10:11], v[148:149], v[10:11]                // 000000004CAC: D3B1400A 18021594
	v_mul_f32_dpp v8, v155, v8 row_newbcast:4 row_mask:0xf bank_mask:0xf// 000000004CB4: 0A1010FA FF01549B
	v_mul_f32_dpp v9, v155, v9 row_newbcast:5 row_mask:0xf bank_mask:0xf// 000000004CBC: 0A1212FA FF01559B
	v_mul_f32_dpp v10, v155, v10 row_newbcast:6 row_mask:0xf bank_mask:0xf// 000000004CC4: 0A1414FA FF01569B
	v_mul_f32_dpp v11, v155, v11 row_newbcast:7 row_mask:0xf bank_mask:0xf// 000000004CCC: 0A1616FA FF01579B
	v_pk_mul_f32 v[12:13], v[148:149], v[12:13]                // 000000004CD4: D3B1400C 18021994
	v_pk_mul_f32 v[14:15], v[148:149], v[14:15]                // 000000004CDC: D3B1400E 18021D94
	v_mul_f32_dpp v12, v155, v12 row_newbcast:8 row_mask:0xf bank_mask:0xf// 000000004CE4: 0A1818FA FF01589B
	v_mul_f32_dpp v13, v155, v13 row_newbcast:9 row_mask:0xf bank_mask:0xf// 000000004CEC: 0A1A1AFA FF01599B
	v_mul_f32_dpp v14, v155, v14 row_newbcast:10 row_mask:0xf bank_mask:0xf// 000000004CF4: 0A1C1CFA FF015A9B
	v_mul_f32_dpp v15, v155, v15 row_newbcast:11 row_mask:0xf bank_mask:0xf// 000000004CFC: 0A1E1EFA FF015B9B
	v_pk_mul_f32 v[16:17], v[148:149], v[16:17]                // 000000004D04: D3B14010 18022194
	v_pk_mul_f32 v[18:19], v[148:149], v[18:19]                // 000000004D0C: D3B14012 18022594
	v_mul_f32_dpp v16, v155, v16 row_newbcast:12 row_mask:0xf bank_mask:0xf// 000000004D14: 0A2020FA FF015C9B
	v_mul_f32_dpp v17, v155, v17 row_newbcast:13 row_mask:0xf bank_mask:0xf// 000000004D1C: 0A2222FA FF015D9B
	v_mul_f32_dpp v18, v155, v18 row_newbcast:14 row_mask:0xf bank_mask:0xf// 000000004D24: 0A2424FA FF015E9B
	v_mul_f32_dpp v19, v155, v19 row_newbcast:15 row_mask:0xf bank_mask:0xf// 000000004D2C: 0A2626FA FF015F9B
	v_pk_mul_f32 v[20:21], v[150:151], v[20:21]                // 000000004D34: D3B14014 18022996
	v_pk_mul_f32 v[22:23], v[150:151], v[22:23]                // 000000004D3C: D3B14016 18022D96
	v_mul_f32_dpp v20, v155, v20 row_newbcast:0 row_mask:0xf bank_mask:0xf// 000000004D44: 0A2828FA FF01509B
	v_mul_f32_dpp v21, v155, v21 row_newbcast:1 row_mask:0xf bank_mask:0xf// 000000004D4C: 0A2A2AFA FF01519B
	v_mul_f32_dpp v22, v155, v22 row_newbcast:2 row_mask:0xf bank_mask:0xf// 000000004D54: 0A2C2CFA FF01529B
	v_mul_f32_dpp v23, v155, v23 row_newbcast:3 row_mask:0xf bank_mask:0xf// 000000004D5C: 0A2E2EFA FF01539B
	v_pk_mul_f32 v[24:25], v[150:151], v[24:25]                // 000000004D64: D3B14018 18023196
	v_pk_mul_f32 v[26:27], v[150:151], v[26:27]                // 000000004D6C: D3B1401A 18023596
	v_mul_f32_dpp v24, v155, v24 row_newbcast:4 row_mask:0xf bank_mask:0xf// 000000004D74: 0A3030FA FF01549B
	v_mul_f32_dpp v25, v155, v25 row_newbcast:5 row_mask:0xf bank_mask:0xf// 000000004D7C: 0A3232FA FF01559B
	v_mul_f32_dpp v26, v155, v26 row_newbcast:6 row_mask:0xf bank_mask:0xf// 000000004D84: 0A3434FA FF01569B
	v_mul_f32_dpp v27, v155, v27 row_newbcast:7 row_mask:0xf bank_mask:0xf// 000000004D8C: 0A3636FA FF01579B
	v_pk_mul_f32 v[28:29], v[150:151], v[28:29]                // 000000004D94: D3B1401C 18023996
	v_pk_mul_f32 v[30:31], v[150:151], v[30:31]                // 000000004D9C: D3B1401E 18023D96
	v_mul_f32_dpp v28, v155, v28 row_newbcast:8 row_mask:0xf bank_mask:0xf// 000000004DA4: 0A3838FA FF01589B
	v_mul_f32_dpp v29, v155, v29 row_newbcast:9 row_mask:0xf bank_mask:0xf// 000000004DAC: 0A3A3AFA FF01599B
	v_mul_f32_dpp v30, v155, v30 row_newbcast:10 row_mask:0xf bank_mask:0xf// 000000004DB4: 0A3C3CFA FF015A9B
	v_mul_f32_dpp v31, v155, v31 row_newbcast:11 row_mask:0xf bank_mask:0xf// 000000004DBC: 0A3E3EFA FF015B9B
	v_pk_mul_f32 v[32:33], v[150:151], v[32:33]                // 000000004DC4: D3B14020 18024196
	v_pk_mul_f32 v[34:35], v[150:151], v[34:35]                // 000000004DCC: D3B14022 18024596
	v_mul_f32_dpp v32, v155, v32 row_newbcast:12 row_mask:0xf bank_mask:0xf// 000000004DD4: 0A4040FA FF015C9B
	v_mul_f32_dpp v33, v155, v33 row_newbcast:13 row_mask:0xf bank_mask:0xf// 000000004DDC: 0A4242FA FF015D9B
	v_mul_f32_dpp v34, v155, v34 row_newbcast:14 row_mask:0xf bank_mask:0xf// 000000004DE4: 0A4444FA FF015E9B
	v_mul_f32_dpp v35, v155, v35 row_newbcast:15 row_mask:0xf bank_mask:0xf// 000000004DEC: 0A4646FA FF015F9B
	v_pk_mul_f32 v[36:37], v[152:153], v[36:37]                // 000000004DF4: D3B14024 18024998
	v_pk_mul_f32 v[38:39], v[152:153], v[38:39]                // 000000004DFC: D3B14026 18024D98
	v_mul_f32_dpp v36, v155, v36 row_newbcast:0 row_mask:0xf bank_mask:0xf// 000000004E04: 0A4848FA FF01509B
	v_mul_f32_dpp v37, v155, v37 row_newbcast:1 row_mask:0xf bank_mask:0xf// 000000004E0C: 0A4A4AFA FF01519B
	v_mul_f32_dpp v38, v155, v38 row_newbcast:2 row_mask:0xf bank_mask:0xf// 000000004E14: 0A4C4CFA FF01529B
	v_mul_f32_dpp v39, v155, v39 row_newbcast:3 row_mask:0xf bank_mask:0xf// 000000004E1C: 0A4E4EFA FF01539B
	v_pk_mul_f32 v[40:41], v[152:153], v[40:41]                // 000000004E24: D3B14028 18025198
	v_pk_mul_f32 v[42:43], v[152:153], v[42:43]                // 000000004E2C: D3B1402A 18025598
	v_mul_f32_dpp v40, v155, v40 row_newbcast:4 row_mask:0xf bank_mask:0xf// 000000004E34: 0A5050FA FF01549B
	v_mul_f32_dpp v41, v155, v41 row_newbcast:5 row_mask:0xf bank_mask:0xf// 000000004E3C: 0A5252FA FF01559B
	v_mul_f32_dpp v42, v155, v42 row_newbcast:6 row_mask:0xf bank_mask:0xf// 000000004E44: 0A5454FA FF01569B
	v_mul_f32_dpp v43, v155, v43 row_newbcast:7 row_mask:0xf bank_mask:0xf// 000000004E4C: 0A5656FA FF01579B
	v_pk_mul_f32 v[44:45], v[152:153], v[44:45]                // 000000004E54: D3B1402C 18025998
	v_pk_mul_f32 v[46:47], v[152:153], v[46:47]                // 000000004E5C: D3B1402E 18025D98
	v_mul_f32_dpp v44, v155, v44 row_newbcast:8 row_mask:0xf bank_mask:0xf// 000000004E64: 0A5858FA FF01589B
	v_mul_f32_dpp v45, v155, v45 row_newbcast:9 row_mask:0xf bank_mask:0xf// 000000004E6C: 0A5A5AFA FF01599B
	v_mul_f32_dpp v46, v155, v46 row_newbcast:10 row_mask:0xf bank_mask:0xf// 000000004E74: 0A5C5CFA FF015A9B
	v_mul_f32_dpp v47, v155, v47 row_newbcast:11 row_mask:0xf bank_mask:0xf// 000000004E7C: 0A5E5EFA FF015B9B
	v_pk_mul_f32 v[48:49], v[152:153], v[48:49]                // 000000004E84: D3B14030 18026198
	v_pk_mul_f32 v[50:51], v[152:153], v[50:51]                // 000000004E8C: D3B14032 18026598
	v_mul_f32_dpp v48, v155, v48 row_newbcast:12 row_mask:0xf bank_mask:0xf// 000000004E94: 0A6060FA FF015C9B
	v_mul_f32_dpp v49, v155, v49 row_newbcast:13 row_mask:0xf bank_mask:0xf// 000000004E9C: 0A6262FA FF015D9B
	v_mul_f32_dpp v50, v155, v50 row_newbcast:14 row_mask:0xf bank_mask:0xf// 000000004EA4: 0A6464FA FF015E9B
	v_mul_f32_dpp v51, v155, v51 row_newbcast:15 row_mask:0xf bank_mask:0xf// 000000004EAC: 0A6666FA FF015F9B
	v_mov_b32_e32 v182, v4                                     // 000000004EB4: 7F6C0304
	v_max3_f32 v182, v4, v5, v182                              // 000000004EB8: D1D300B6 06DA0B04
	v_max3_f32 v182, v6, v7, v182                              // 000000004EC0: D1D300B6 06DA0F06
	v_max3_f32 v182, v8, v9, v182                              // 000000004EC8: D1D300B6 06DA1308
	v_max3_f32 v182, v10, v11, v182                            // 000000004ED0: D1D300B6 06DA170A
	v_max3_f32 v182, v12, v13, v182                            // 000000004ED8: D1D300B6 06DA1B0C
	v_max3_f32 v182, v14, v15, v182                            // 000000004EE0: D1D300B6 06DA1F0E
	v_max3_f32 v182, v16, v17, v182                            // 000000004EE8: D1D300B6 06DA2310
	v_max3_f32 v182, v18, v19, v182                            // 000000004EF0: D1D300B6 06DA2712
	v_mov_b32_e32 v183, v20                                    // 000000004EF8: 7F6E0314
	v_max3_f32 v183, v20, v21, v183                            // 000000004EFC: D1D300B7 06DE2B14
	v_max3_f32 v183, v22, v23, v183                            // 000000004F04: D1D300B7 06DE2F16
	v_max3_f32 v183, v24, v25, v183                            // 000000004F0C: D1D300B7 06DE3318
	v_max3_f32 v183, v26, v27, v183                            // 000000004F14: D1D300B7 06DE371A
	v_max3_f32 v183, v28, v29, v183                            // 000000004F1C: D1D300B7 06DE3B1C
	v_max3_f32 v183, v30, v31, v183                            // 000000004F24: D1D300B7 06DE3F1E
	v_max3_f32 v183, v32, v33, v183                            // 000000004F2C: D1D300B7 06DE4320
	v_max3_f32 v183, v34, v35, v183                            // 000000004F34: D1D300B7 06DE4722
	v_mov_b32_e32 v184, v36                                    // 000000004F3C: 7F700324
	v_max3_f32 v184, v36, v37, v184                            // 000000004F40: D1D300B8 06E24B24
	v_max3_f32 v184, v38, v39, v184                            // 000000004F48: D1D300B8 06E24F26
	v_max3_f32 v184, v40, v41, v184                            // 000000004F50: D1D300B8 06E25328
	v_max3_f32 v184, v42, v43, v184                            // 000000004F58: D1D300B8 06E2572A
	v_max3_f32 v184, v44, v45, v184                            // 000000004F60: D1D300B8 06E25B2C
	v_max3_f32 v184, v46, v47, v184                            // 000000004F68: D1D300B8 06E25F2E
	v_max3_f32 v184, v48, v49, v184                            // 000000004F70: D1D300B8 06E26330
	v_max3_f32 v184, v50, v51, v184                            // 000000004F78: D1D300B8 06E26732
	ds_bpermute_b32 v188, v208, v182                           // 000000004F80: D87E0000 BC00B6D0
	ds_bpermute_b32 v189, v209, v182                           // 000000004F88: D87E0000 BD00B6D1
	ds_bpermute_b32 v190, v210, v182                           // 000000004F90: D87E0000 BE00B6D2
	ds_bpermute_b32 v191, v208, v183                           // 000000004F98: D87E0000 BF00B7D0
	ds_bpermute_b32 v192, v209, v183                           // 000000004FA0: D87E0000 C000B7D1
	ds_bpermute_b32 v193, v210, v183                           // 000000004FA8: D87E0000 C100B7D2
	ds_bpermute_b32 v194, v208, v184                           // 000000004FB0: D87E0000 C200B8D0
	ds_bpermute_b32 v195, v209, v184                           // 000000004FB8: D87E0000 C300B8D1
	ds_bpermute_b32 v196, v210, v184                           // 000000004FC0: D87E0000 C400B8D2
	v_pk_mul_f32 v[124:125], v[170:171], v[124:125]            // 000000004FC8: D3B1407C 1802F9AA
	v_pk_mul_f32 v[126:127], v[170:171], v[126:127]            // 000000004FD0: D3B1407E 1802FDAA
	v_pk_mul_f32 v[128:129], v[170:171], v[128:129]            // 000000004FD8: D3B14080 180301AA
	v_pk_mul_f32 v[130:131], v[170:171], v[130:131]            // 000000004FE0: D3B14082 180305AA
	v_pk_mul_f32 v[132:133], v[172:173], v[132:133]            // 000000004FE8: D3B14084 180309AC
	v_pk_mul_f32 v[134:135], v[172:173], v[134:135]            // 000000004FF0: D3B14086 18030DAC
	v_pk_mul_f32 v[136:137], v[172:173], v[136:137]            // 000000004FF8: D3B14088 180311AC
	v_pk_mul_f32 v[138:139], v[172:173], v[138:139]            // 000000005000: D3B1408A 180315AC
	v_pk_mul_f32 v[140:141], v[174:175], v[140:141]            // 000000005008: D3B1408C 180319AE
	v_pk_mul_f32 v[142:143], v[174:175], v[142:143]            // 000000005010: D3B1408E 18031DAE
	v_pk_mul_f32 v[144:145], v[174:175], v[144:145]            // 000000005018: D3B14090 180321AE
	v_pk_mul_f32 v[146:147], v[174:175], v[146:147]            // 000000005020: D3B14092 180325AE
	s_waitcnt lgkmcnt(6)                                       // 000000005028: BF8CC67F
	v_max3_f32 v182, v188, v189, v182                          // 00000000502C: D1D300B6 06DB7BBC
	v_max_f32_e32 v182, v190, v182                             // 000000005034: 176D6DBE
	s_waitcnt lgkmcnt(3)                                       // 000000005038: BF8CC37F
	v_max3_f32 v183, v191, v192, v183                          // 00000000503C: D1D300B7 06DF81BF
	v_max_f32_e32 v183, v193, v183                             // 000000005044: 176F6FC1
	s_waitcnt lgkmcnt(0)                                       // 000000005048: BF8CC07F
	v_max3_f32 v184, v194, v195, v184                          // 00000000504C: D1D300B8 06E387C2
	v_max_f32_e32 v184, v196, v184                             // 000000005054: 177171C4
	ds_write_b128 v249, v[182:185]                             // 000000005058: D9BE0000 0000B6F9
	s_waitcnt lgkmcnt(0)                                       // 000000005060: BF8CC07F
	s_barrier                                                  // 000000005064: BF8A0000
	ds_read_b128 v[188:191], v250                              // 000000005068: D9FE0000 BC0000FA
	ds_read_b128 v[192:195], v250 offset:256                   // 000000005070: D9FE0100 C00000FA
	ds_read_b128 v[196:199], v250 offset:512                   // 000000005078: D9FE0200 C40000FA
	ds_read_b128 v[200:203], v250 offset:768                   // 000000005080: D9FE0300 C80000FA
	v_pk_mul_f32 v[100:101], v[158:159], v[100:101]            // 000000005088: D3B14064 1802C99E
	v_pk_mul_f32 v[102:103], v[158:159], v[102:103]            // 000000005090: D3B14066 1802CD9E
	v_pk_mul_f32 v[104:105], v[158:159], v[104:105]            // 000000005098: D3B14068 1802D19E
	v_pk_mul_f32 v[106:107], v[158:159], v[106:107]            // 0000000050A0: D3B1406A 1802D59E
	v_pk_mul_f32 v[108:109], v[160:161], v[108:109]            // 0000000050A8: D3B1406C 1802D9A0
	v_pk_mul_f32 v[110:111], v[160:161], v[110:111]            // 0000000050B0: D3B1406E 1802DDA0
	v_pk_mul_f32 v[112:113], v[160:161], v[112:113]            // 0000000050B8: D3B14070 1802E1A0
	v_pk_mul_f32 v[114:115], v[160:161], v[114:115]            // 0000000050C0: D3B14072 1802E5A0
	v_pk_mul_f32 v[116:117], v[162:163], v[116:117]            // 0000000050C8: D3B14074 1802E9A2
	v_pk_mul_f32 v[118:119], v[162:163], v[118:119]            // 0000000050D0: D3B14076 1802EDA2
	v_pk_mul_f32 v[120:121], v[162:163], v[120:121]            // 0000000050D8: D3B14078 1802F1A2
	v_pk_mul_f32 v[122:123], v[162:163], v[122:123]            // 0000000050E0: D3B1407A 1802F5A2
	s_waitcnt lgkmcnt(0)                                       // 0000000050E8: BF8CC07F
	v_max3_f32 v182, v188, v192, v182                          // 0000000050EC: D1D300B6 06DB81BC
	v_max3_f32 v183, v189, v193, v183                          // 0000000050F4: D1D300B7 06DF83BD
	v_max3_f32 v184, v190, v194, v184                          // 0000000050FC: D1D300B8 06E385BE
	v_max3_f32 v182, v196, v200, v182                          // 000000005104: D1D300B6 06DB91C4
	v_max3_f32 v183, v197, v201, v183                          // 00000000510C: D1D300B7 06DF93C5
	v_max3_f32 v184, v198, v202, v184                          // 000000005114: D1D300B8 06E395C6
	v_max_f32_e32 v167, v182, v164                             // 00000000511C: 174F49B6
	v_mul_f32_e64 v204, -s46, v167                             // 000000005120: D10500CC 20034E2E
	v_mov_b32_e32 v205, v204                                   // 000000005128: 7F9A03CC
	v_pk_fma_f32 v[4:5], v[4:5], s[46:47], v[204:205]          // 00000000512C: D3B04004 1F305D04
	v_pk_fma_f32 v[6:7], v[6:7], s[46:47], v[204:205]          // 000000005134: D3B04006 1F305D06
	v_exp_f32_e32 v4, v4                                       // 00000000513C: 7E084104
	v_exp_f32_e32 v5, v5                                       // 000000005140: 7E0A4105
	v_exp_f32_e32 v6, v6                                       // 000000005144: 7E0C4106
	v_exp_f32_e32 v7, v7                                       // 000000005148: 7E0E4107
	v_pk_fma_f32 v[8:9], v[8:9], s[46:47], v[204:205]          // 00000000514C: D3B04008 1F305D08
	v_pk_fma_f32 v[10:11], v[10:11], s[46:47], v[204:205]      // 000000005154: D3B0400A 1F305D0A
	v_exp_f32_e32 v8, v8                                       // 00000000515C: 7E104108
	v_exp_f32_e32 v9, v9                                       // 000000005160: 7E124109
	v_exp_f32_e32 v10, v10                                     // 000000005164: 7E14410A
	v_exp_f32_e32 v11, v11                                     // 000000005168: 7E16410B
	v_pk_fma_f32 v[12:13], v[12:13], s[46:47], v[204:205]      // 00000000516C: D3B0400C 1F305D0C
	v_pk_fma_f32 v[14:15], v[14:15], s[46:47], v[204:205]      // 000000005174: D3B0400E 1F305D0E
	v_exp_f32_e32 v12, v12                                     // 00000000517C: 7E18410C
	v_exp_f32_e32 v13, v13                                     // 000000005180: 7E1A410D
	v_exp_f32_e32 v14, v14                                     // 000000005184: 7E1C410E
	v_exp_f32_e32 v15, v15                                     // 000000005188: 7E1E410F
	v_pk_fma_f32 v[16:17], v[16:17], s[46:47], v[204:205]      // 00000000518C: D3B04010 1F305D10
	v_pk_fma_f32 v[18:19], v[18:19], s[46:47], v[204:205]      // 000000005194: D3B04012 1F305D12
	v_exp_f32_e32 v16, v16                                     // 00000000519C: 7E204110
	v_exp_f32_e32 v17, v17                                     // 0000000051A0: 7E224111
	v_exp_f32_e32 v18, v18                                     // 0000000051A4: 7E244112
	v_exp_f32_e32 v19, v19                                     // 0000000051A8: 7E264113
	v_max_f32_e32 v168, v183, v165                             // 0000000051AC: 17514BB7
	v_mul_f32_e64 v204, -s46, v168                             // 0000000051B0: D10500CC 2003502E
	v_mov_b32_e32 v205, v204                                   // 0000000051B8: 7F9A03CC
	v_pk_fma_f32 v[20:21], v[20:21], s[46:47], v[204:205]      // 0000000051BC: D3B04014 1F305D14
	v_pk_fma_f32 v[22:23], v[22:23], s[46:47], v[204:205]      // 0000000051C4: D3B04016 1F305D16
	v_exp_f32_e32 v20, v20                                     // 0000000051CC: 7E284114
	v_exp_f32_e32 v21, v21                                     // 0000000051D0: 7E2A4115
	v_exp_f32_e32 v22, v22                                     // 0000000051D4: 7E2C4116
	v_exp_f32_e32 v23, v23                                     // 0000000051D8: 7E2E4117
	v_pk_fma_f32 v[24:25], v[24:25], s[46:47], v[204:205]      // 0000000051DC: D3B04018 1F305D18
	v_pk_fma_f32 v[26:27], v[26:27], s[46:47], v[204:205]      // 0000000051E4: D3B0401A 1F305D1A
	v_exp_f32_e32 v24, v24                                     // 0000000051EC: 7E304118
	v_exp_f32_e32 v25, v25                                     // 0000000051F0: 7E324119
	v_exp_f32_e32 v26, v26                                     // 0000000051F4: 7E34411A
	v_exp_f32_e32 v27, v27                                     // 0000000051F8: 7E36411B
	v_pk_fma_f32 v[28:29], v[28:29], s[46:47], v[204:205]      // 0000000051FC: D3B0401C 1F305D1C
	v_pk_fma_f32 v[30:31], v[30:31], s[46:47], v[204:205]      // 000000005204: D3B0401E 1F305D1E
	v_exp_f32_e32 v28, v28                                     // 00000000520C: 7E38411C
	v_exp_f32_e32 v29, v29                                     // 000000005210: 7E3A411D
	v_exp_f32_e32 v30, v30                                     // 000000005214: 7E3C411E
	v_exp_f32_e32 v31, v31                                     // 000000005218: 7E3E411F
	v_pk_fma_f32 v[32:33], v[32:33], s[46:47], v[204:205]      // 00000000521C: D3B04020 1F305D20
	v_pk_fma_f32 v[34:35], v[34:35], s[46:47], v[204:205]      // 000000005224: D3B04022 1F305D22
	v_exp_f32_e32 v32, v32                                     // 00000000522C: 7E404120
	v_exp_f32_e32 v33, v33                                     // 000000005230: 7E424121
	v_exp_f32_e32 v34, v34                                     // 000000005234: 7E444122
	v_exp_f32_e32 v35, v35                                     // 000000005238: 7E464123
	v_max_f32_e32 v169, v184, v166                             // 00000000523C: 17534DB8
	v_mul_f32_e64 v204, -s46, v169                             // 000000005240: D10500CC 2003522E
	v_mov_b32_e32 v205, v204                                   // 000000005248: 7F9A03CC
	v_pk_fma_f32 v[36:37], v[36:37], s[46:47], v[204:205]      // 00000000524C: D3B04024 1F305D24
	v_pk_fma_f32 v[38:39], v[38:39], s[46:47], v[204:205]      // 000000005254: D3B04026 1F305D26
	v_exp_f32_e32 v36, v36                                     // 00000000525C: 7E484124
	v_exp_f32_e32 v37, v37                                     // 000000005260: 7E4A4125
	v_exp_f32_e32 v38, v38                                     // 000000005264: 7E4C4126
	v_exp_f32_e32 v39, v39                                     // 000000005268: 7E4E4127
	v_pk_fma_f32 v[40:41], v[40:41], s[46:47], v[204:205]      // 00000000526C: D3B04028 1F305D28
	v_pk_fma_f32 v[42:43], v[42:43], s[46:47], v[204:205]      // 000000005274: D3B0402A 1F305D2A
	v_exp_f32_e32 v40, v40                                     // 00000000527C: 7E504128
	v_exp_f32_e32 v41, v41                                     // 000000005280: 7E524129
	v_exp_f32_e32 v42, v42                                     // 000000005284: 7E54412A
	v_exp_f32_e32 v43, v43                                     // 000000005288: 7E56412B
	v_pk_fma_f32 v[44:45], v[44:45], s[46:47], v[204:205]      // 00000000528C: D3B0402C 1F305D2C
	v_pk_fma_f32 v[46:47], v[46:47], s[46:47], v[204:205]      // 000000005294: D3B0402E 1F305D2E
	v_exp_f32_e32 v44, v44                                     // 00000000529C: 7E58412C
	v_exp_f32_e32 v45, v45                                     // 0000000052A0: 7E5A412D
	v_exp_f32_e32 v46, v46                                     // 0000000052A4: 7E5C412E
	v_exp_f32_e32 v47, v47                                     // 0000000052A8: 7E5E412F
	v_pk_fma_f32 v[48:49], v[48:49], s[46:47], v[204:205]      // 0000000052AC: D3B04030 1F305D30
	v_pk_fma_f32 v[50:51], v[50:51], s[46:47], v[204:205]      // 0000000052B4: D3B04032 1F305D32
	v_exp_f32_e32 v48, v48                                     // 0000000052BC: 7E604130
	v_exp_f32_e32 v49, v49                                     // 0000000052C0: 7E624131
	v_exp_f32_e32 v50, v50                                     // 0000000052C4: 7E644132
	v_exp_f32_e32 v51, v51                                     // 0000000052C8: 7E664133
	v_mul_f32_dpp v52, v157, v4 row_newbcast:0 row_mask:0xf bank_mask:0xf// 0000000052CC: 0A6808FA FF01509D
	v_mul_f32_dpp v53, v157, v5 row_newbcast:1 row_mask:0xf bank_mask:0xf// 0000000052D4: 0A6A0AFA FF01519D
	v_mul_f32_dpp v54, v157, v6 row_newbcast:2 row_mask:0xf bank_mask:0xf// 0000000052DC: 0A6C0CFA FF01529D
	v_mul_f32_dpp v55, v157, v7 row_newbcast:3 row_mask:0xf bank_mask:0xf// 0000000052E4: 0A6E0EFA FF01539D
	v_mul_f32_dpp v56, v157, v8 row_newbcast:4 row_mask:0xf bank_mask:0xf// 0000000052EC: 0A7010FA FF01549D
	v_mul_f32_dpp v57, v157, v9 row_newbcast:5 row_mask:0xf bank_mask:0xf// 0000000052F4: 0A7212FA FF01559D
	v_mul_f32_dpp v58, v157, v10 row_newbcast:6 row_mask:0xf bank_mask:0xf// 0000000052FC: 0A7414FA FF01569D
	v_mul_f32_dpp v59, v157, v11 row_newbcast:7 row_mask:0xf bank_mask:0xf// 000000005304: 0A7616FA FF01579D
	v_mul_f32_dpp v60, v157, v12 row_newbcast:8 row_mask:0xf bank_mask:0xf// 00000000530C: 0A7818FA FF01589D
	v_mul_f32_dpp v61, v157, v13 row_newbcast:9 row_mask:0xf bank_mask:0xf// 000000005314: 0A7A1AFA FF01599D
	v_mul_f32_dpp v62, v157, v14 row_newbcast:10 row_mask:0xf bank_mask:0xf// 00000000531C: 0A7C1CFA FF015A9D
	v_mul_f32_dpp v63, v157, v15 row_newbcast:11 row_mask:0xf bank_mask:0xf// 000000005324: 0A7E1EFA FF015B9D
	v_mul_f32_dpp v64, v157, v16 row_newbcast:12 row_mask:0xf bank_mask:0xf// 00000000532C: 0A8020FA FF015C9D
	v_mul_f32_dpp v65, v157, v17 row_newbcast:13 row_mask:0xf bank_mask:0xf// 000000005334: 0A8222FA FF015D9D
	v_mul_f32_dpp v66, v157, v18 row_newbcast:14 row_mask:0xf bank_mask:0xf// 00000000533C: 0A8424FA FF015E9D
	v_mul_f32_dpp v67, v157, v19 row_newbcast:15 row_mask:0xf bank_mask:0xf// 000000005344: 0A8626FA FF015F9D
	v_mul_f32_dpp v68, v157, v20 row_newbcast:0 row_mask:0xf bank_mask:0xf// 00000000534C: 0A8828FA FF01509D
	v_mul_f32_dpp v69, v157, v21 row_newbcast:1 row_mask:0xf bank_mask:0xf// 000000005354: 0A8A2AFA FF01519D
	v_mul_f32_dpp v70, v157, v22 row_newbcast:2 row_mask:0xf bank_mask:0xf// 00000000535C: 0A8C2CFA FF01529D
	v_mul_f32_dpp v71, v157, v23 row_newbcast:3 row_mask:0xf bank_mask:0xf// 000000005364: 0A8E2EFA FF01539D
	v_mul_f32_dpp v72, v157, v24 row_newbcast:4 row_mask:0xf bank_mask:0xf// 00000000536C: 0A9030FA FF01549D
	v_mul_f32_dpp v73, v157, v25 row_newbcast:5 row_mask:0xf bank_mask:0xf// 000000005374: 0A9232FA FF01559D
	v_mul_f32_dpp v74, v157, v26 row_newbcast:6 row_mask:0xf bank_mask:0xf// 00000000537C: 0A9434FA FF01569D
	v_mul_f32_dpp v75, v157, v27 row_newbcast:7 row_mask:0xf bank_mask:0xf// 000000005384: 0A9636FA FF01579D
	v_mul_f32_dpp v76, v157, v28 row_newbcast:8 row_mask:0xf bank_mask:0xf// 00000000538C: 0A9838FA FF01589D
	v_mul_f32_dpp v77, v157, v29 row_newbcast:9 row_mask:0xf bank_mask:0xf// 000000005394: 0A9A3AFA FF01599D
	v_mul_f32_dpp v78, v157, v30 row_newbcast:10 row_mask:0xf bank_mask:0xf// 00000000539C: 0A9C3CFA FF015A9D
	v_mul_f32_dpp v79, v157, v31 row_newbcast:11 row_mask:0xf bank_mask:0xf// 0000000053A4: 0A9E3EFA FF015B9D
	v_mul_f32_dpp v80, v157, v32 row_newbcast:12 row_mask:0xf bank_mask:0xf// 0000000053AC: 0AA040FA FF015C9D
	v_mul_f32_dpp v81, v157, v33 row_newbcast:13 row_mask:0xf bank_mask:0xf// 0000000053B4: 0AA242FA FF015D9D
	v_mul_f32_dpp v82, v157, v34 row_newbcast:14 row_mask:0xf bank_mask:0xf// 0000000053BC: 0AA444FA FF015E9D
	v_mul_f32_dpp v83, v157, v35 row_newbcast:15 row_mask:0xf bank_mask:0xf// 0000000053C4: 0AA646FA FF015F9D
	v_mul_f32_dpp v84, v157, v36 row_newbcast:0 row_mask:0xf bank_mask:0xf// 0000000053CC: 0AA848FA FF01509D
	v_mul_f32_dpp v85, v157, v37 row_newbcast:1 row_mask:0xf bank_mask:0xf// 0000000053D4: 0AAA4AFA FF01519D
	v_mul_f32_dpp v86, v157, v38 row_newbcast:2 row_mask:0xf bank_mask:0xf// 0000000053DC: 0AAC4CFA FF01529D
	v_mul_f32_dpp v87, v157, v39 row_newbcast:3 row_mask:0xf bank_mask:0xf// 0000000053E4: 0AAE4EFA FF01539D
	v_mul_f32_dpp v88, v157, v40 row_newbcast:4 row_mask:0xf bank_mask:0xf// 0000000053EC: 0AB050FA FF01549D
	v_mul_f32_dpp v89, v157, v41 row_newbcast:5 row_mask:0xf bank_mask:0xf// 0000000053F4: 0AB252FA FF01559D
	v_mul_f32_dpp v90, v157, v42 row_newbcast:6 row_mask:0xf bank_mask:0xf// 0000000053FC: 0AB454FA FF01569D
	v_mul_f32_dpp v91, v157, v43 row_newbcast:7 row_mask:0xf bank_mask:0xf// 000000005404: 0AB656FA FF01579D
	v_mul_f32_dpp v92, v157, v44 row_newbcast:8 row_mask:0xf bank_mask:0xf// 00000000540C: 0AB858FA FF01589D
	v_mul_f32_dpp v93, v157, v45 row_newbcast:9 row_mask:0xf bank_mask:0xf// 000000005414: 0ABA5AFA FF01599D
	v_mul_f32_dpp v94, v157, v46 row_newbcast:10 row_mask:0xf bank_mask:0xf// 00000000541C: 0ABC5CFA FF015A9D
	v_mul_f32_dpp v95, v157, v47 row_newbcast:11 row_mask:0xf bank_mask:0xf// 000000005424: 0ABE5EFA FF015B9D
	v_mul_f32_dpp v96, v157, v48 row_newbcast:12 row_mask:0xf bank_mask:0xf// 00000000542C: 0AC060FA FF015C9D
	v_mul_f32_dpp v97, v157, v49 row_newbcast:13 row_mask:0xf bank_mask:0xf// 000000005434: 0AC262FA FF015D9D
	v_mul_f32_dpp v98, v157, v50 row_newbcast:14 row_mask:0xf bank_mask:0xf// 00000000543C: 0AC464FA FF015E9D
	v_mul_f32_dpp v99, v157, v51 row_newbcast:15 row_mask:0xf bank_mask:0xf// 000000005444: 0AC666FA FF015F9D
	v_mov_b32_e32 v182, 0x358637bd                             // 00000000544C: 7F6C02FF 358637BD
	v_max3_f32 v182, |v52|, |v53|, v182                        // 000000005454: D1D303B6 06DA6B34
	v_max3_f32 v182, |v54|, |v55|, v182                        // 00000000545C: D1D303B6 06DA6F36
	v_max3_f32 v182, |v56|, |v57|, v182                        // 000000005464: D1D303B6 06DA7338
	v_max3_f32 v182, |v58|, |v59|, v182                        // 00000000546C: D1D303B6 06DA773A
	v_max3_f32 v182, |v60|, |v61|, v182                        // 000000005474: D1D303B6 06DA7B3C
	v_max3_f32 v182, |v62|, |v63|, v182                        // 00000000547C: D1D303B6 06DA7F3E
	v_max3_f32 v182, |v64|, |v65|, v182                        // 000000005484: D1D303B6 06DA8340
	v_max3_f32 v182, |v66|, |v67|, v182                        // 00000000548C: D1D303B6 06DA8742
	v_mov_b32_e32 v183, 0x358637bd                             // 000000005494: 7F6E02FF 358637BD
	v_max3_f32 v183, |v68|, |v69|, v183                        // 00000000549C: D1D303B7 06DE8B44
	v_max3_f32 v183, |v70|, |v71|, v183                        // 0000000054A4: D1D303B7 06DE8F46
	v_max3_f32 v183, |v72|, |v73|, v183                        // 0000000054AC: D1D303B7 06DE9348
	v_max3_f32 v183, |v74|, |v75|, v183                        // 0000000054B4: D1D303B7 06DE974A
	v_max3_f32 v183, |v76|, |v77|, v183                        // 0000000054BC: D1D303B7 06DE9B4C
	v_max3_f32 v183, |v78|, |v79|, v183                        // 0000000054C4: D1D303B7 06DE9F4E
	v_max3_f32 v183, |v80|, |v81|, v183                        // 0000000054CC: D1D303B7 06DEA350
	v_max3_f32 v183, |v82|, |v83|, v183                        // 0000000054D4: D1D303B7 06DEA752
	v_mov_b32_e32 v184, 0x358637bd                             // 0000000054DC: 7F7002FF 358637BD
	v_max3_f32 v184, |v84|, |v85|, v184                        // 0000000054E4: D1D303B8 06E2AB54
	v_max3_f32 v184, |v86|, |v87|, v184                        // 0000000054EC: D1D303B8 06E2AF56
	v_max3_f32 v184, |v88|, |v89|, v184                        // 0000000054F4: D1D303B8 06E2B358
	v_max3_f32 v184, |v90|, |v91|, v184                        // 0000000054FC: D1D303B8 06E2B75A
	v_max3_f32 v184, |v92|, |v93|, v184                        // 000000005504: D1D303B8 06E2BB5C
	v_max3_f32 v184, |v94|, |v95|, v184                        // 00000000550C: D1D303B8 06E2BF5E
	v_max3_f32 v184, |v96|, |v97|, v184                        // 000000005514: D1D303B8 06E2C360
	v_max3_f32 v184, |v98|, |v99|, v184                        // 00000000551C: D1D303B8 06E2C762
	ds_bpermute_b32 v188, v208, v182                           // 000000005524: D87E0000 BC00B6D0
	ds_bpermute_b32 v189, v209, v182                           // 00000000552C: D87E0000 BD00B6D1
	ds_bpermute_b32 v190, v210, v182                           // 000000005534: D87E0000 BE00B6D2
	ds_bpermute_b32 v191, v208, v183                           // 00000000553C: D87E0000 BF00B7D0
	ds_bpermute_b32 v192, v209, v183                           // 000000005544: D87E0000 C000B7D1
	ds_bpermute_b32 v193, v210, v183                           // 00000000554C: D87E0000 C100B7D2
	ds_bpermute_b32 v194, v208, v184                           // 000000005554: D87E0000 C200B8D0
	ds_bpermute_b32 v195, v209, v184                           // 00000000555C: D87E0000 C300B8D1
	ds_bpermute_b32 v196, v210, v184                           // 000000005564: D87E0000 C400B8D2
	s_waitcnt lgkmcnt(6)                                       // 00000000556C: BF8CC67F
	v_max3_f32 v182, v188, v189, v182                          // 000000005570: D1D300B6 06DB7BBC
	v_max_f32_e32 v182, v190, v182                             // 000000005578: 176D6DBE
	s_waitcnt lgkmcnt(3)                                       // 00000000557C: BF8CC37F
	v_max3_f32 v183, v191, v192, v183                          // 000000005580: D1D300B7 06DF81BF
	v_max_f32_e32 v183, v193, v183                             // 000000005588: 176F6FC1
	s_waitcnt lgkmcnt(0)                                       // 00000000558C: BF8CC07F
	v_max3_f32 v184, v194, v195, v184                          // 000000005590: D1D300B8 06E387C2
	v_max_f32_e32 v184, v196, v184                             // 000000005598: 177171C4
	ds_write_b128 v249, v[182:185] offset:4096                 // 00000000559C: D9BE1000 0000B6F9
	buffer_load_dword v154, v235, s[20:23], 0 offen            // 0000000055A4: E0501000 80059AEB
	v_sub_f32_e32 v170, v164, v167                             // 0000000055AC: 05554FA4
	v_cmp_eq_u32_e64 s[98:99], v222, v164                      // 0000000055B0: D0CA0062 000349DE
	v_cndmask_b32_e64 v170, v170, 0, s[98:99]                  // 0000000055B8: D10000AA 018901AA
	v_mov_b32_e32 v164, v167                                   // 0000000055C0: 7F4803A7
	v_mul_f32_e32 v170, s46, v170                              // 0000000055C4: 0B55542E
	v_exp_f32_e32 v170, v170                                   // 0000000055C8: 7F5441AA
	v_sub_f32_e32 v172, v165, v168                             // 0000000055CC: 055951A5
	v_cmp_eq_u32_e64 s[98:99], v222, v165                      // 0000000055D0: D0CA0062 00034BDE
	v_cndmask_b32_e64 v172, v172, 0, s[98:99]                  // 0000000055D8: D10000AC 018901AC
	v_mov_b32_e32 v165, v168                                   // 0000000055E0: 7F4A03A8
	v_mul_f32_e32 v172, s46, v172                              // 0000000055E4: 0B59582E
	v_exp_f32_e32 v172, v172                                   // 0000000055E8: 7F5841AC
	v_sub_f32_e32 v174, v166, v169                             // 0000000055EC: 055D53A6
	v_cmp_eq_u32_e64 s[98:99], v222, v166                      // 0000000055F0: D0CA0062 00034DDE
	v_cndmask_b32_e64 v174, v174, 0, s[98:99]                  // 0000000055F8: D10000AE 018901AE
	v_mov_b32_e32 v166, v169                                   // 000000005600: 7F4C03A9
	v_mul_f32_e32 v174, s46, v174                              // 000000005604: 0B5D5C2E
	v_exp_f32_e32 v174, v174                                   // 000000005608: 7F5C41AE
	v_mov_b32_e32 v171, v170                                   // 00000000560C: 7F5603AA
	v_mov_b32_e32 v173, v172                                   // 000000005610: 7F5A03AC
	v_mov_b32_e32 v175, v174                                   // 000000005614: 7F5E03AE
	s_waitcnt lgkmcnt(0)                                       // 000000005618: BF8CC07F
	s_barrier                                                  // 00000000561C: BF8A0000
	ds_read_b128 v[188:191], v250 offset:4096                  // 000000005620: D9FE1000 BC0000FA
	ds_read_b128 v[192:195], v250 offset:4352                  // 000000005628: D9FE1100 C00000FA
	ds_read_b128 v[196:199], v250 offset:4608                  // 000000005630: D9FE1200 C40000FA
	ds_read_b128 v[200:203], v250 offset:4864                  // 000000005638: D9FE1300 C80000FA
	buffer_load_dword v156, v236, s[24:27], 0 offen            // 000000005640: E0501000 80069CEC
	v_mul_f32_e32 v176, v170, v176                             // 000000005648: 0B6161AA
	v_mov_b32_e32 v177, 0                                      // 00000000564C: 7F620280
	v_pk_add_f32 v[176:177], v[4:5], v[176:177]                // 000000005650: D3B240B0 18036104
	v_pk_add_f32 v[176:177], v[6:7], v[176:177]                // 000000005658: D3B240B0 18036106
	v_pk_add_f32 v[176:177], v[8:9], v[176:177]                // 000000005660: D3B240B0 18036108
	v_pk_add_f32 v[176:177], v[10:11], v[176:177]              // 000000005668: D3B240B0 1803610A
	v_pk_add_f32 v[176:177], v[12:13], v[176:177]              // 000000005670: D3B240B0 1803610C
	v_pk_add_f32 v[176:177], v[14:15], v[176:177]              // 000000005678: D3B240B0 1803610E
	v_pk_add_f32 v[176:177], v[16:17], v[176:177]              // 000000005680: D3B240B0 18036110
	v_pk_add_f32 v[176:177], v[18:19], v[176:177]              // 000000005688: D3B240B0 18036112
	v_add_f32_e32 v176, v177, v176                             // 000000005690: 036161B1
	v_mul_f32_e32 v178, v172, v178                             // 000000005694: 0B6565AC
	v_mov_b32_e32 v179, 0                                      // 000000005698: 7F660280
	v_pk_add_f32 v[178:179], v[20:21], v[178:179]              // 00000000569C: D3B240B2 18036514
	v_pk_add_f32 v[178:179], v[22:23], v[178:179]              // 0000000056A4: D3B240B2 18036516
	v_pk_add_f32 v[178:179], v[24:25], v[178:179]              // 0000000056AC: D3B240B2 18036518
	v_pk_add_f32 v[178:179], v[26:27], v[178:179]              // 0000000056B4: D3B240B2 1803651A
	v_pk_add_f32 v[178:179], v[28:29], v[178:179]              // 0000000056BC: D3B240B2 1803651C
	v_pk_add_f32 v[178:179], v[30:31], v[178:179]              // 0000000056C4: D3B240B2 1803651E
	v_pk_add_f32 v[178:179], v[32:33], v[178:179]              // 0000000056CC: D3B240B2 18036520
	v_pk_add_f32 v[178:179], v[34:35], v[178:179]              // 0000000056D4: D3B240B2 18036522
	v_add_f32_e32 v178, v179, v178                             // 0000000056DC: 036565B3
	v_mul_f32_e32 v180, v174, v180                             // 0000000056E0: 0B6969AE
	v_mov_b32_e32 v181, 0                                      // 0000000056E4: 7F6A0280
	v_pk_add_f32 v[180:181], v[36:37], v[180:181]              // 0000000056E8: D3B240B4 18036924
	v_pk_add_f32 v[180:181], v[38:39], v[180:181]              // 0000000056F0: D3B240B4 18036926
	v_pk_add_f32 v[180:181], v[40:41], v[180:181]              // 0000000056F8: D3B240B4 18036928
	v_pk_add_f32 v[180:181], v[42:43], v[180:181]              // 000000005700: D3B240B4 1803692A
	v_pk_add_f32 v[180:181], v[44:45], v[180:181]              // 000000005708: D3B240B4 1803692C
	v_pk_add_f32 v[180:181], v[46:47], v[180:181]              // 000000005710: D3B240B4 1803692E
	v_pk_add_f32 v[180:181], v[48:49], v[180:181]              // 000000005718: D3B240B4 18036930
	v_pk_add_f32 v[180:181], v[50:51], v[180:181]              // 000000005720: D3B240B4 18036932
	v_add_f32_e32 v180, v181, v180                             // 000000005728: 036969B5
	s_waitcnt lgkmcnt(0)                                       // 00000000572C: BF8CC07F
	v_max3_f32 v182, v188, v192, v182                          // 000000005730: D1D300B6 06DB81BC
	v_max3_f32 v183, v189, v193, v183                          // 000000005738: D1D300B7 06DF83BD
	v_max3_f32 v184, v190, v194, v184                          // 000000005740: D1D300B8 06E385BE
	v_max3_f32 v182, v196, v200, v182                          // 000000005748: D1D300B6 06DB91C4
	v_max3_f32 v183, v197, v201, v183                          // 000000005750: D1D300B7 06DF93C5
	v_max3_f32 v184, v198, v202, v184                          // 000000005758: D1D300B8 06E395C6
	v_rcp_f32_e32 v182, v182                                   // 000000005760: 7F6C45B6
	v_rcp_f32_e32 v183, v183                                   // 000000005764: 7F6E45B7
	v_rcp_f32_e32 v184, v184                                   // 000000005768: 7F7045B8
	v_mul_f32_e32 v182, 0x43700000, v182                       // 00000000576C: 0B6D6CFF 43700000
	v_mul_f32_e32 v183, 0x43700000, v183                       // 000000005774: 0B6F6EFF 43700000
	v_mul_f32_e32 v184, 0x43700000, v184                       // 00000000577C: 0B7170FF 43700000
	v_mov_b32_e32 v186, v184                                   // 000000005784: 7F7403B8
	v_mov_b32_e32 v187, v184                                   // 000000005788: 7F7603B8
	v_mov_b32_e32 v184, v183                                   // 00000000578C: 7F7003B7
	v_mov_b32_e32 v185, v183                                   // 000000005790: 7F7203B7
	v_mov_b32_e32 v183, v182                                   // 000000005794: 7F6E03B6
	v_pk_mul_f32 v[4:5], v[182:183], v[52:53]                  // 000000005798: D3B14004 180269B6
	v_pk_mul_f32 v[6:7], v[182:183], v[54:55]                  // 0000000057A0: D3B14006 18026DB6
	v_pk_mul_f32 v[8:9], v[182:183], v[56:57]                  // 0000000057A8: D3B14008 180271B6
	v_pk_mul_f32 v[10:11], v[182:183], v[58:59]                // 0000000057B0: D3B1400A 180275B6
	v_pk_mul_f32 v[12:13], v[182:183], v[60:61]                // 0000000057B8: D3B1400C 180279B6
	v_pk_mul_f32 v[14:15], v[182:183], v[62:63]                // 0000000057C0: D3B1400E 18027DB6
	v_pk_mul_f32 v[16:17], v[182:183], v[64:65]                // 0000000057C8: D3B14010 180281B6
	v_pk_mul_f32 v[18:19], v[182:183], v[66:67]                // 0000000057D0: D3B14012 180285B6
	v_pk_mul_f32 v[20:21], v[184:185], v[68:69]                // 0000000057D8: D3B14014 180289B8
	v_pk_mul_f32 v[22:23], v[184:185], v[70:71]                // 0000000057E0: D3B14016 18028DB8
	v_pk_mul_f32 v[24:25], v[184:185], v[72:73]                // 0000000057E8: D3B14018 180291B8
	v_pk_mul_f32 v[26:27], v[184:185], v[74:75]                // 0000000057F0: D3B1401A 180295B8
	v_pk_mul_f32 v[28:29], v[184:185], v[76:77]                // 0000000057F8: D3B1401C 180299B8
	v_pk_mul_f32 v[30:31], v[184:185], v[78:79]                // 000000005800: D3B1401E 18029DB8
	v_pk_mul_f32 v[32:33], v[184:185], v[80:81]                // 000000005808: D3B14020 1802A1B8
	v_pk_mul_f32 v[34:35], v[184:185], v[82:83]                // 000000005810: D3B14022 1802A5B8
	v_pk_mul_f32 v[36:37], v[186:187], v[84:85]                // 000000005818: D3B14024 1802A9BA
	v_pk_mul_f32 v[38:39], v[186:187], v[86:87]                // 000000005820: D3B14026 1802ADBA
	v_pk_mul_f32 v[40:41], v[186:187], v[88:89]                // 000000005828: D3B14028 1802B1BA
	v_pk_mul_f32 v[42:43], v[186:187], v[90:91]                // 000000005830: D3B1402A 1802B5BA
	v_pk_mul_f32 v[44:45], v[186:187], v[92:93]                // 000000005838: D3B1402C 1802B9BA
	v_pk_mul_f32 v[46:47], v[186:187], v[94:95]                // 000000005840: D3B1402E 1802BDBA
	v_pk_mul_f32 v[48:49], v[186:187], v[96:97]                // 000000005848: D3B14030 1802C1BA
	v_pk_mul_f32 v[50:51], v[186:187], v[98:99]                // 000000005850: D3B14032 1802C5BA
	v_cvt_pk_fp8_f32 v4, v4, v5                                // 000000005858: D2A20004 00020B04
	v_cvt_pk_fp8_f32 v4, v6, v7 op_sel:[0,0,1]                 // 000000005860: D2A24004 00020F06
	v_cvt_pk_fp8_f32 v5, v8, v9                                // 000000005868: D2A20005 00021308
	v_cvt_pk_fp8_f32 v5, v10, v11 op_sel:[0,0,1]               // 000000005870: D2A24005 0002170A
	v_cvt_pk_fp8_f32 v6, v12, v13                              // 000000005878: D2A20006 00021B0C
	v_cvt_pk_fp8_f32 v6, v14, v15 op_sel:[0,0,1]               // 000000005880: D2A24006 00021F0E
	v_cvt_pk_fp8_f32 v7, v16, v17                              // 000000005888: D2A20007 00022310
	v_cvt_pk_fp8_f32 v7, v18, v19 op_sel:[0,0,1]               // 000000005890: D2A24007 00022712
	v_cvt_pk_fp8_f32 v8, v20, v21                              // 000000005898: D2A20008 00022B14
	v_cvt_pk_fp8_f32 v8, v22, v23 op_sel:[0,0,1]               // 0000000058A0: D2A24008 00022F16
	v_cvt_pk_fp8_f32 v9, v24, v25                              // 0000000058A8: D2A20009 00023318
	v_cvt_pk_fp8_f32 v9, v26, v27 op_sel:[0,0,1]               // 0000000058B0: D2A24009 0002371A
	v_cvt_pk_fp8_f32 v10, v28, v29                             // 0000000058B8: D2A2000A 00023B1C
	v_cvt_pk_fp8_f32 v10, v30, v31 op_sel:[0,0,1]              // 0000000058C0: D2A2400A 00023F1E
	v_cvt_pk_fp8_f32 v11, v32, v33                             // 0000000058C8: D2A2000B 00024320
	v_cvt_pk_fp8_f32 v11, v34, v35 op_sel:[0,0,1]              // 0000000058D0: D2A2400B 00024722
	v_cvt_pk_fp8_f32 v12, v36, v37                             // 0000000058D8: D2A2000C 00024B24
	v_cvt_pk_fp8_f32 v12, v38, v39 op_sel:[0,0,1]              // 0000000058E0: D2A2400C 00024F26
	v_cvt_pk_fp8_f32 v13, v40, v41                             // 0000000058E8: D2A2000D 00025328
	v_cvt_pk_fp8_f32 v13, v42, v43 op_sel:[0,0,1]              // 0000000058F0: D2A2400D 0002572A
	v_cvt_pk_fp8_f32 v14, v44, v45                             // 0000000058F8: D2A2000E 00025B2C
	v_cvt_pk_fp8_f32 v14, v46, v47 op_sel:[0,0,1]              // 000000005900: D2A2400E 00025F2E
	v_cvt_pk_fp8_f32 v15, v48, v49                             // 000000005908: D2A2000F 00026330
	v_cvt_pk_fp8_f32 v15, v50, v51 op_sel:[0,0,1]              // 000000005910: D2A2400F 00026732
	ds_write_b32 v251, v4 offset:8192                          // 000000005918: D81A2000 000004FB
	ds_write_b32 v251, v5 offset:9216                          // 000000005920: D81A2400 000005FB
	ds_write_b32 v251, v6 offset:10240                         // 000000005928: D81A2800 000006FB
	ds_write_b32 v251, v7 offset:11264                         // 000000005930: D81A2C00 000007FB
	ds_write_b32 v251, v8 offset:12288                         // 000000005938: D81A3000 000008FB
	ds_write_b32 v251, v9 offset:13312                         // 000000005940: D81A3400 000009FB
	ds_write_b32 v251, v10 offset:14336                        // 000000005948: D81A3800 00000AFB
	ds_write_b32 v251, v11 offset:15360                        // 000000005950: D81A3C00 00000BFB
	ds_write_b32 v251, v12 offset:16384                        // 000000005958: D81A4000 00000CFB
	ds_write_b32 v251, v13 offset:17408                        // 000000005960: D81A4400 00000DFB
	ds_write_b32 v251, v14 offset:18432                        // 000000005968: D81A4800 00000EFB
	ds_write_b32 v251, v15 offset:19456                        // 000000005970: D81A4C00 00000FFB
	v_rcp_f32_e32 v158, v182                                   // 000000005978: 7F3C45B6
	v_rcp_f32_e32 v160, v184                                   // 00000000597C: 7F4045B8
	v_rcp_f32_e32 v162, v186                                   // 000000005980: 7F4445BA
	v_mov_b32_e32 v159, v158                                   // 000000005984: 7F3E039E
	v_mov_b32_e32 v161, v160                                   // 000000005988: 7F4203A0
	v_mov_b32_e32 v163, v162                                   // 00000000598C: 7F4603A2
	v_pk_add_f32 v[124:125], v[124:125], v[100:101]            // 000000005990: D3B2407C 1802C97C
	v_pk_add_f32 v[126:127], v[126:127], v[102:103]            // 000000005998: D3B2407E 1802CD7E
	v_pk_add_f32 v[128:129], v[128:129], v[104:105]            // 0000000059A0: D3B24080 1802D180
	v_pk_add_f32 v[130:131], v[130:131], v[106:107]            // 0000000059A8: D3B24082 1802D582
	v_pk_add_f32 v[132:133], v[132:133], v[108:109]            // 0000000059B0: D3B24084 1802D984
	v_pk_add_f32 v[134:135], v[134:135], v[110:111]            // 0000000059B8: D3B24086 1802DD86
	v_pk_add_f32 v[136:137], v[136:137], v[112:113]            // 0000000059C0: D3B24088 1802E188
	v_pk_add_f32 v[138:139], v[138:139], v[114:115]            // 0000000059C8: D3B2408A 1802E58A
	v_pk_add_f32 v[140:141], v[140:141], v[116:117]            // 0000000059D0: D3B2408C 1802E98C
	v_pk_add_f32 v[142:143], v[142:143], v[118:119]            // 0000000059D8: D3B2408E 1802ED8E
	v_pk_add_f32 v[144:145], v[144:145], v[120:121]            // 0000000059E0: D3B24090 1802F190
	v_pk_add_f32 v[146:147], v[146:147], v[122:123]            // 0000000059E8: D3B24092 1802F592
	s_waitcnt lgkmcnt(0)                                       // 0000000059F0: BF8CC07F
	s_barrier                                                  // 0000000059F4: BF8A0000
	ds_read_b128 v[4:7], v252 offset:8192                      // 0000000059F8: D9FE2000 040000FC
	ds_read_b128 v[8:11], v252 offset:9216                     // 000000005A00: D9FE2400 080000FC
	ds_read_b128 v[12:15], v252 offset:10240                   // 000000005A08: D9FE2800 0C0000FC
	ds_read_b128 v[16:19], v252 offset:11264                   // 000000005A10: D9FE2C00 100000FC
	ds_read_b128 v[20:23], v252 offset:12288                   // 000000005A18: D9FE3000 140000FC
	ds_read_b128 v[24:27], v252 offset:13312                   // 000000005A20: D9FE3400 180000FC
	ds_read_b128 v[28:31], v252 offset:14336                   // 000000005A28: D9FE3800 1C0000FC
	ds_read_b128 v[32:35], v252 offset:15360                   // 000000005A30: D9FE3C00 200000FC
	ds_read_b128 v[36:39], v252 offset:16384                   // 000000005A38: D9FE4000 240000FC
	ds_read_b128 v[40:43], v252 offset:17408                   // 000000005A40: D9FE4400 280000FC
	ds_read_b128 v[44:47], v252 offset:18432                   // 000000005A48: D9FE4800 2C0000FC
	ds_read_b128 v[48:51], v252 offset:19456                   // 000000005A50: D9FE4C00 300000FC
	s_waitcnt vmcnt(10)                                        // 000000005A58: BF8C0F7A
	s_waitcnt lgkmcnt(11)                                      // 000000005A5C: BF8CCB7F
	v_mfma_f32_16x16x32_fp8_fp8 v[100:103], a[120:121], v[4:5], 0// 000000005A60: D3F30064 0A020978
	v_mfma_f32_16x16x32_fp8_fp8 v[104:107], a[136:137], v[4:5], 0// 000000005A68: D3F30068 0A020988
	v_mfma_f32_16x16x32_fp8_fp8 v[100:103], a[122:123], v[6:7], v[100:103]// 000000005A70: D3F30064 0D920D7A
	buffer_load_dwordx4 a[88:91], v231, s[16:19], 0 offen      // 000000005A78: E05C1000 808458E7
	v_mfma_f32_16x16x32_fp8_fp8 v[104:107], a[138:139], v[6:7], v[104:107]// 000000005A80: D3F30068 0DA20D8A
	s_waitcnt lgkmcnt(10)                                      // 000000005A88: BF8CCA7F
	v_mfma_f32_16x16x32_fp8_fp8 v[100:103], a[124:125], v[8:9], v[100:103]// 000000005A8C: D3F30064 0D92117C
	v_mfma_f32_16x16x32_fp8_fp8 v[104:107], a[140:141], v[8:9], v[104:107]// 000000005A94: D3F30068 0DA2118C
	v_mfma_f32_16x16x32_fp8_fp8 v[100:103], a[126:127], v[10:11], v[100:103]// 000000005A9C: D3F30064 0D92157E
	buffer_load_dwordx4 a[92:95], v232, s[16:19], 0 offen      // 000000005AA4: E05C1000 80845CE8
	v_mfma_f32_16x16x32_fp8_fp8 v[104:107], a[142:143], v[10:11], v[104:107]// 000000005AAC: D3F30068 0DA2158E
	s_waitcnt lgkmcnt(9)                                       // 000000005AB4: BF8CC97F
	v_mfma_f32_16x16x32_fp8_fp8 v[100:103], a[128:129], v[12:13], v[100:103]// 000000005AB8: D3F30064 0D921980
	v_mfma_f32_16x16x32_fp8_fp8 v[104:107], a[144:145], v[12:13], v[104:107]// 000000005AC0: D3F30068 0DA21990
	v_mfma_f32_16x16x32_fp8_fp8 v[100:103], a[130:131], v[14:15], v[100:103]// 000000005AC8: D3F30064 0D921D82
	buffer_load_dwordx4 a[96:99], v233, s[16:19], 0 offen      // 000000005AD0: E05C1000 808460E9
	v_mfma_f32_16x16x32_fp8_fp8 v[104:107], a[146:147], v[14:15], v[104:107]// 000000005AD8: D3F30068 0DA21D92
	s_waitcnt lgkmcnt(8)                                       // 000000005AE0: BF8CC87F
	v_mfma_f32_16x16x32_fp8_fp8 v[100:103], a[132:133], v[16:17], v[100:103]// 000000005AE4: D3F30064 0D922184
	v_mfma_f32_16x16x32_fp8_fp8 v[104:107], a[148:149], v[16:17], v[104:107]// 000000005AEC: D3F30068 0DA22194
	v_mfma_f32_16x16x32_fp8_fp8 v[100:103], a[134:135], v[18:19], v[100:103]// 000000005AF4: D3F30064 0D922586
	buffer_load_dwordx4 a[100:103], v234, s[16:19], 0 offen    // 000000005AFC: E05C1000 808464EA
	v_mfma_f32_16x16x32_fp8_fp8 v[104:107], a[150:151], v[18:19], v[104:107]// 000000005B04: D3F30068 0DA22596
	s_waitcnt lgkmcnt(7)                                       // 000000005B0C: BF8CC77F
	v_mfma_f32_16x16x32_fp8_fp8 v[108:111], a[120:121], v[20:21], 0// 000000005B10: D3F3006C 0A022978
	v_mfma_f32_16x16x32_fp8_fp8 v[112:115], a[136:137], v[20:21], 0// 000000005B18: D3F30070 0A022988
	v_mfma_f32_16x16x32_fp8_fp8 v[108:111], a[122:123], v[22:23], v[108:111]// 000000005B20: D3F3006C 0DB22D7A
	buffer_load_dwordx4 a[104:107], v231, s[16:19], 0 offen offset:1024// 000000005B28: E05C1400 808468E7
	v_mfma_f32_16x16x32_fp8_fp8 v[112:115], a[138:139], v[22:23], v[112:115]// 000000005B30: D3F30070 0DC22D8A
	s_waitcnt lgkmcnt(6)                                       // 000000005B38: BF8CC67F
	v_mfma_f32_16x16x32_fp8_fp8 v[108:111], a[124:125], v[24:25], v[108:111]// 000000005B3C: D3F3006C 0DB2317C
	v_mfma_f32_16x16x32_fp8_fp8 v[112:115], a[140:141], v[24:25], v[112:115]// 000000005B44: D3F30070 0DC2318C
	v_mfma_f32_16x16x32_fp8_fp8 v[108:111], a[126:127], v[26:27], v[108:111]// 000000005B4C: D3F3006C 0DB2357E
	buffer_load_dwordx4 a[108:111], v232, s[16:19], 0 offen offset:1024// 000000005B54: E05C1400 80846CE8
	v_mfma_f32_16x16x32_fp8_fp8 v[112:115], a[142:143], v[26:27], v[112:115]// 000000005B5C: D3F30070 0DC2358E
	s_waitcnt lgkmcnt(5)                                       // 000000005B64: BF8CC57F
	v_mfma_f32_16x16x32_fp8_fp8 v[108:111], a[128:129], v[28:29], v[108:111]// 000000005B68: D3F3006C 0DB23980
	v_mfma_f32_16x16x32_fp8_fp8 v[112:115], a[144:145], v[28:29], v[112:115]// 000000005B70: D3F30070 0DC23990
	v_mfma_f32_16x16x32_fp8_fp8 v[108:111], a[130:131], v[30:31], v[108:111]// 000000005B78: D3F3006C 0DB23D82
	buffer_load_dwordx4 a[112:115], v233, s[16:19], 0 offen offset:1024// 000000005B80: E05C1400 808470E9
	v_mfma_f32_16x16x32_fp8_fp8 v[112:115], a[146:147], v[30:31], v[112:115]// 000000005B88: D3F30070 0DC23D92
	s_waitcnt lgkmcnt(4)                                       // 000000005B90: BF8CC47F
	v_mfma_f32_16x16x32_fp8_fp8 v[108:111], a[132:133], v[32:33], v[108:111]// 000000005B94: D3F3006C 0DB24184
	v_mfma_f32_16x16x32_fp8_fp8 v[112:115], a[148:149], v[32:33], v[112:115]// 000000005B9C: D3F30070 0DC24194
	v_mfma_f32_16x16x32_fp8_fp8 v[108:111], a[134:135], v[34:35], v[108:111]// 000000005BA4: D3F3006C 0DB24586
	buffer_load_dwordx4 a[116:119], v234, s[16:19], 0 offen offset:1024// 000000005BAC: E05C1400 808474EA
	v_mfma_f32_16x16x32_fp8_fp8 v[112:115], a[150:151], v[34:35], v[112:115]// 000000005BB4: D3F30070 0DC24596
	s_waitcnt lgkmcnt(3)                                       // 000000005BBC: BF8CC37F
	v_mfma_f32_16x16x32_fp8_fp8 v[116:119], a[120:121], v[36:37], 0// 000000005BC0: D3F30074 0A024978
	v_mfma_f32_16x16x32_fp8_fp8 v[120:123], a[136:137], v[36:37], 0// 000000005BC8: D3F30078 0A024988
	v_mfma_f32_16x16x32_fp8_fp8 v[116:119], a[122:123], v[38:39], v[116:119]// 000000005BD0: D3F30074 0DD24D7A
	v_mfma_f32_16x16x32_fp8_fp8 v[120:123], a[138:139], v[38:39], v[120:123]// 000000005BD8: D3F30078 0DE24D8A
	s_waitcnt lgkmcnt(2)                                       // 000000005BE0: BF8CC27F
	v_mfma_f32_16x16x32_fp8_fp8 v[116:119], a[124:125], v[40:41], v[116:119]// 000000005BE4: D3F30074 0DD2517C
	v_mfma_f32_16x16x32_fp8_fp8 v[120:123], a[140:141], v[40:41], v[120:123]// 000000005BEC: D3F30078 0DE2518C
	v_mfma_f32_16x16x32_fp8_fp8 v[116:119], a[126:127], v[42:43], v[116:119]// 000000005BF4: D3F30074 0DD2557E
	v_mfma_f32_16x16x32_fp8_fp8 v[120:123], a[142:143], v[42:43], v[120:123]// 000000005BFC: D3F30078 0DE2558E
	s_waitcnt lgkmcnt(1)                                       // 000000005C04: BF8CC17F
	v_mfma_f32_16x16x32_fp8_fp8 v[116:119], a[128:129], v[44:45], v[116:119]// 000000005C08: D3F30074 0DD25980
	v_mfma_f32_16x16x32_fp8_fp8 v[120:123], a[144:145], v[44:45], v[120:123]// 000000005C10: D3F30078 0DE25990
	v_mfma_f32_16x16x32_fp8_fp8 v[116:119], a[130:131], v[46:47], v[116:119]// 000000005C18: D3F30074 0DD25D82
	v_mfma_f32_16x16x32_fp8_fp8 v[120:123], a[146:147], v[46:47], v[120:123]// 000000005C20: D3F30078 0DE25D92
	s_waitcnt lgkmcnt(0)                                       // 000000005C28: BF8CC07F
	v_mfma_f32_16x16x32_fp8_fp8 v[116:119], a[132:133], v[48:49], v[116:119]// 000000005C2C: D3F30074 0DD26184
	v_mfma_f32_16x16x32_fp8_fp8 v[120:123], a[148:149], v[48:49], v[120:123]// 000000005C34: D3F30078 0DE26194
	v_mfma_f32_16x16x32_fp8_fp8 v[116:119], a[134:135], v[50:51], v[116:119]// 000000005C3C: D3F30074 0DD26586
	v_mfma_f32_16x16x32_fp8_fp8 v[120:123], a[150:151], v[50:51], v[120:123]// 000000005C44: D3F30078 0DE26596
	s_addk_i32 s64, 0x100                                      // 000000005C4C: B7400100
	s_cmp_lt_i32 s64, s63                                      // 000000005C50: BF043F40
	s_cbranch_scc0 label_372A                                  // 000000005C54: BF842A14
	s_waitcnt vmcnt(10)                                        // 000000005C58: BF8C0F7A
	v_mfma_f32_16x16x32_fp8_fp8 v[4:7], a[24:25], a[0:1], 0    // 000000005C5C: D3F30004 1A020118
	s_add_u32 s12, s86, s69                                    // 000000005C64: 800C4556
	s_addc_u32 s13, s87, 0                                     // 000000005C68: 820D8057
	v_mfma_f32_16x16x32_fp8_fp8 v[4:7], a[26:27], a[2:3], v[4:7]// 000000005C6C: D3F30004 1C12051A
	s_add_u32 s16, s88, s70                                    // 000000005C74: 80104658
	s_addc_u32 s17, s89, 0                                     // 000000005C78: 82118059
	v_mfma_f32_16x16x32_fp8_fp8 v[4:7], a[28:29], a[4:5], v[4:7]// 000000005C7C: D3F30004 1C12091C
	buffer_load_dwordx4 a[56:59], v229, s[12:15], 0 offen      // 000000005C84: E05C1000 808338E5
	v_mfma_f32_16x16x32_fp8_fp8 v[4:7], a[30:31], a[6:7], v[4:7]// 000000005C8C: D3F30004 1C120D1E
	s_add_u32 s20, s90, s71                                    // 000000005C94: 8014475A
	s_addc_u32 s21, s91, 0                                     // 000000005C98: 8215805B
	v_mfma_f32_16x16x32_fp8_fp8 v[8:11], a[32:33], a[0:1], 0   // 000000005C9C: D3F30008 1A020120
	s_add_u32 s24, s92, s71                                    // 000000005CA4: 8018475C
	s_addc_u32 s25, s93, 0                                     // 000000005CA8: 8219805D
	v_mfma_f32_16x16x32_fp8_fp8 v[8:11], a[34:35], a[2:3], v[8:11]// 000000005CAC: D3F30008 1C220522
	s_mul_i32 s69, s59, s50                                    // 000000005CB4: 9245323B
	s_mul_i32 s71, s59, s66                                    // 000000005CB8: 9247423B
	v_mfma_f32_16x16x32_fp8_fp8 v[8:11], a[36:37], a[4:5], v[8:11]// 000000005CBC: D3F30008 1C220924
	buffer_load_dwordx4 a[60:63], v230, s[12:15], 0 offen      // 000000005CC4: E05C1000 80833CE6
	v_mfma_f32_16x16x32_fp8_fp8 v[8:11], a[38:39], a[6:7], v[8:11]// 000000005CCC: D3F30008 1C220D26
	s_mul_i32 s54, s78, s51                                    // 000000005CD4: 9236334E
	s_add_u32 s69, s69, s54                                    // 000000005CD8: 80453645
	v_mfma_f32_16x16x32_fp8_fp8 v[12:15], a[40:41], a[0:1], 0  // 000000005CDC: D3F3000C 1A020128
	s_mov_b32 s70, s69                                         // 000000005CE4: BEC60045
	v_mfma_f32_16x16x32_fp8_fp8 v[12:15], a[42:43], a[2:3], v[12:15]// 000000005CE8: D3F3000C 1C32052A
	s_mul_i32 s54, s78, s100                                   // 000000005CF0: 9236644E
	s_add_u32 s71, s71, s54                                    // 000000005CF4: 80473647
	v_mfma_f32_16x16x32_fp8_fp8 v[12:15], a[44:45], a[4:5], v[12:15]// 000000005CF8: D3F3000C 1C32092C
	buffer_load_dwordx4 a[64:67], v229, s[12:15], 0 offen offset:1024// 000000005D00: E05C1400 808340E5
	v_mfma_f32_16x16x32_fp8_fp8 v[12:15], a[46:47], a[6:7], v[12:15]// 000000005D08: D3F3000C 1C320D2E
	v_mfma_f32_16x16x32_fp8_fp8 v[16:19], a[48:49], a[0:1], 0  // 000000005D10: D3F30010 1A020130
	v_mfma_f32_16x16x32_fp8_fp8 v[16:19], a[50:51], a[2:3], v[16:19]// 000000005D18: D3F30010 1C420532
	v_mfma_f32_16x16x32_fp8_fp8 v[16:19], a[52:53], a[4:5], v[16:19]// 000000005D20: D3F30010 1C420934
	buffer_load_dwordx4 a[68:71], v230, s[12:15], 0 offen offset:1024// 000000005D28: E05C1400 808344E6
	v_mfma_f32_16x16x32_fp8_fp8 v[16:19], a[54:55], a[6:7], v[16:19]// 000000005D30: D3F30010 1C420D36
	v_mfma_f32_16x16x32_fp8_fp8 v[20:23], a[24:25], a[8:9], 0  // 000000005D38: D3F30014 1A021118
	v_mfma_f32_16x16x32_fp8_fp8 v[20:23], a[26:27], a[10:11], v[20:23]// 000000005D40: D3F30014 1C52151A
	v_mfma_f32_16x16x32_fp8_fp8 v[20:23], a[28:29], a[12:13], v[20:23]// 000000005D48: D3F30014 1C52191C
	buffer_load_dwordx4 a[72:75], v229, s[12:15], 0 offen offset:2048// 000000005D50: E05C1800 808348E5
	v_mfma_f32_16x16x32_fp8_fp8 v[20:23], a[30:31], a[14:15], v[20:23]// 000000005D58: D3F30014 1C521D1E
	v_mfma_f32_16x16x32_fp8_fp8 v[24:27], a[32:33], a[8:9], 0  // 000000005D60: D3F30018 1A021120
	v_mfma_f32_16x16x32_fp8_fp8 v[24:27], a[34:35], a[10:11], v[24:27]// 000000005D68: D3F30018 1C621522
	v_mfma_f32_16x16x32_fp8_fp8 v[24:27], a[36:37], a[12:13], v[24:27]// 000000005D70: D3F30018 1C621924
	buffer_load_dwordx4 a[76:79], v230, s[12:15], 0 offen offset:2048// 000000005D78: E05C1800 80834CE6
	v_mfma_f32_16x16x32_fp8_fp8 v[24:27], a[38:39], a[14:15], v[24:27]// 000000005D80: D3F30018 1C621D26
	v_mfma_f32_16x16x32_fp8_fp8 v[28:31], a[40:41], a[8:9], 0  // 000000005D88: D3F3001C 1A021128
	v_mfma_f32_16x16x32_fp8_fp8 v[28:31], a[42:43], a[10:11], v[28:31]// 000000005D90: D3F3001C 1C72152A
	v_mfma_f32_16x16x32_fp8_fp8 v[28:31], a[44:45], a[12:13], v[28:31]// 000000005D98: D3F3001C 1C72192C
	buffer_load_dwordx4 a[80:83], v229, s[12:15], 0 offen offset:3072// 000000005DA0: E05C1C00 808350E5
	v_mfma_f32_16x16x32_fp8_fp8 v[28:31], a[46:47], a[14:15], v[28:31]// 000000005DA8: D3F3001C 1C721D2E
	v_mfma_f32_16x16x32_fp8_fp8 v[32:35], a[48:49], a[8:9], 0  // 000000005DB0: D3F30020 1A021130
	v_mfma_f32_16x16x32_fp8_fp8 v[32:35], a[50:51], a[10:11], v[32:35]// 000000005DB8: D3F30020 1C821532
	v_mfma_f32_16x16x32_fp8_fp8 v[32:35], a[52:53], a[12:13], v[32:35]// 000000005DC0: D3F30020 1C821934
	buffer_load_dwordx4 a[84:87], v230, s[12:15], 0 offen offset:3072// 000000005DC8: E05C1C00 808354E6
	v_mfma_f32_16x16x32_fp8_fp8 v[32:35], a[54:55], a[14:15], v[32:35]// 000000005DD0: D3F30020 1C821D36
	v_mfma_f32_16x16x32_fp8_fp8 v[36:39], a[24:25], a[16:17], 0// 000000005DD8: D3F30024 1A022118
	v_mfma_f32_16x16x32_fp8_fp8 v[36:39], a[26:27], a[18:19], v[36:39]// 000000005DE0: D3F30024 1C92251A
	v_mfma_f32_16x16x32_fp8_fp8 v[36:39], a[28:29], a[20:21], v[36:39]// 000000005DE8: D3F30024 1C92291C
	v_mfma_f32_16x16x32_fp8_fp8 v[36:39], a[30:31], a[22:23], v[36:39]// 000000005DF0: D3F30024 1C922D1E
	v_mfma_f32_16x16x32_fp8_fp8 v[40:43], a[32:33], a[16:17], 0// 000000005DF8: D3F30028 1A022120
	v_mfma_f32_16x16x32_fp8_fp8 v[40:43], a[34:35], a[18:19], v[40:43]// 000000005E00: D3F30028 1CA22522
	v_mfma_f32_16x16x32_fp8_fp8 v[40:43], a[36:37], a[20:21], v[40:43]// 000000005E08: D3F30028 1CA22924
	v_mfma_f32_16x16x32_fp8_fp8 v[40:43], a[38:39], a[22:23], v[40:43]// 000000005E10: D3F30028 1CA22D26
	v_mfma_f32_16x16x32_fp8_fp8 v[44:47], a[40:41], a[16:17], 0// 000000005E18: D3F3002C 1A022128
	v_mfma_f32_16x16x32_fp8_fp8 v[44:47], a[42:43], a[18:19], v[44:47]// 000000005E20: D3F3002C 1CB2252A
	v_mfma_f32_16x16x32_fp8_fp8 v[44:47], a[44:45], a[20:21], v[44:47]// 000000005E28: D3F3002C 1CB2292C
	v_mfma_f32_16x16x32_fp8_fp8 v[44:47], a[46:47], a[22:23], v[44:47]// 000000005E30: D3F3002C 1CB22D2E
	v_mfma_f32_16x16x32_fp8_fp8 v[48:51], a[48:49], a[16:17], 0// 000000005E38: D3F30030 1A022130
	v_mfma_f32_16x16x32_fp8_fp8 v[48:51], a[50:51], a[18:19], v[48:51]// 000000005E40: D3F30030 1CC22532
	v_mfma_f32_16x16x32_fp8_fp8 v[48:51], a[52:53], a[20:21], v[48:51]// 000000005E48: D3F30030 1CC22934
	v_mfma_f32_16x16x32_fp8_fp8 v[48:51], a[54:55], a[22:23], v[48:51]// 000000005E50: D3F30030 1CC22D36
	s_waitcnt vmcnt(16)                                        // 000000005E58: BF8C4F70
	v_pk_mul_f32 v[4:5], v[148:149], v[4:5]                    // 000000005E5C: D3B14004 18020994
	v_pk_mul_f32 v[6:7], v[148:149], v[6:7]                    // 000000005E64: D3B14006 18020D94
	v_mul_f32_dpp v4, v154, v4 row_newbcast:0 row_mask:0xf bank_mask:0xf// 000000005E6C: 0A0808FA FF01509A
	v_mul_f32_dpp v5, v154, v5 row_newbcast:1 row_mask:0xf bank_mask:0xf// 000000005E74: 0A0A0AFA FF01519A
	v_mul_f32_dpp v6, v154, v6 row_newbcast:2 row_mask:0xf bank_mask:0xf// 000000005E7C: 0A0C0CFA FF01529A
	v_mul_f32_dpp v7, v154, v7 row_newbcast:3 row_mask:0xf bank_mask:0xf// 000000005E84: 0A0E0EFA FF01539A
	v_pk_mul_f32 v[8:9], v[148:149], v[8:9]                    // 000000005E8C: D3B14008 18021194
	v_pk_mul_f32 v[10:11], v[148:149], v[10:11]                // 000000005E94: D3B1400A 18021594
	v_mul_f32_dpp v8, v154, v8 row_newbcast:4 row_mask:0xf bank_mask:0xf// 000000005E9C: 0A1010FA FF01549A
	v_mul_f32_dpp v9, v154, v9 row_newbcast:5 row_mask:0xf bank_mask:0xf// 000000005EA4: 0A1212FA FF01559A
	v_mul_f32_dpp v10, v154, v10 row_newbcast:6 row_mask:0xf bank_mask:0xf// 000000005EAC: 0A1414FA FF01569A
	v_mul_f32_dpp v11, v154, v11 row_newbcast:7 row_mask:0xf bank_mask:0xf// 000000005EB4: 0A1616FA FF01579A
	v_pk_mul_f32 v[12:13], v[148:149], v[12:13]                // 000000005EBC: D3B1400C 18021994
	v_pk_mul_f32 v[14:15], v[148:149], v[14:15]                // 000000005EC4: D3B1400E 18021D94
	v_mul_f32_dpp v12, v154, v12 row_newbcast:8 row_mask:0xf bank_mask:0xf// 000000005ECC: 0A1818FA FF01589A
	v_mul_f32_dpp v13, v154, v13 row_newbcast:9 row_mask:0xf bank_mask:0xf// 000000005ED4: 0A1A1AFA FF01599A
	v_mul_f32_dpp v14, v154, v14 row_newbcast:10 row_mask:0xf bank_mask:0xf// 000000005EDC: 0A1C1CFA FF015A9A
	v_mul_f32_dpp v15, v154, v15 row_newbcast:11 row_mask:0xf bank_mask:0xf// 000000005EE4: 0A1E1EFA FF015B9A
	v_pk_mul_f32 v[16:17], v[148:149], v[16:17]                // 000000005EEC: D3B14010 18022194
	v_pk_mul_f32 v[18:19], v[148:149], v[18:19]                // 000000005EF4: D3B14012 18022594
	v_mul_f32_dpp v16, v154, v16 row_newbcast:12 row_mask:0xf bank_mask:0xf// 000000005EFC: 0A2020FA FF015C9A
	v_mul_f32_dpp v17, v154, v17 row_newbcast:13 row_mask:0xf bank_mask:0xf// 000000005F04: 0A2222FA FF015D9A
	v_mul_f32_dpp v18, v154, v18 row_newbcast:14 row_mask:0xf bank_mask:0xf// 000000005F0C: 0A2424FA FF015E9A
	v_mul_f32_dpp v19, v154, v19 row_newbcast:15 row_mask:0xf bank_mask:0xf// 000000005F14: 0A2626FA FF015F9A
	v_pk_mul_f32 v[20:21], v[150:151], v[20:21]                // 000000005F1C: D3B14014 18022996
	v_pk_mul_f32 v[22:23], v[150:151], v[22:23]                // 000000005F24: D3B14016 18022D96
	v_mul_f32_dpp v20, v154, v20 row_newbcast:0 row_mask:0xf bank_mask:0xf// 000000005F2C: 0A2828FA FF01509A
	v_mul_f32_dpp v21, v154, v21 row_newbcast:1 row_mask:0xf bank_mask:0xf// 000000005F34: 0A2A2AFA FF01519A
	v_mul_f32_dpp v22, v154, v22 row_newbcast:2 row_mask:0xf bank_mask:0xf// 000000005F3C: 0A2C2CFA FF01529A
	v_mul_f32_dpp v23, v154, v23 row_newbcast:3 row_mask:0xf bank_mask:0xf// 000000005F44: 0A2E2EFA FF01539A
	v_pk_mul_f32 v[24:25], v[150:151], v[24:25]                // 000000005F4C: D3B14018 18023196
	v_pk_mul_f32 v[26:27], v[150:151], v[26:27]                // 000000005F54: D3B1401A 18023596
	v_mul_f32_dpp v24, v154, v24 row_newbcast:4 row_mask:0xf bank_mask:0xf// 000000005F5C: 0A3030FA FF01549A
	v_mul_f32_dpp v25, v154, v25 row_newbcast:5 row_mask:0xf bank_mask:0xf// 000000005F64: 0A3232FA FF01559A
	v_mul_f32_dpp v26, v154, v26 row_newbcast:6 row_mask:0xf bank_mask:0xf// 000000005F6C: 0A3434FA FF01569A
	v_mul_f32_dpp v27, v154, v27 row_newbcast:7 row_mask:0xf bank_mask:0xf// 000000005F74: 0A3636FA FF01579A
	v_pk_mul_f32 v[28:29], v[150:151], v[28:29]                // 000000005F7C: D3B1401C 18023996
	v_pk_mul_f32 v[30:31], v[150:151], v[30:31]                // 000000005F84: D3B1401E 18023D96
	v_mul_f32_dpp v28, v154, v28 row_newbcast:8 row_mask:0xf bank_mask:0xf// 000000005F8C: 0A3838FA FF01589A
	v_mul_f32_dpp v29, v154, v29 row_newbcast:9 row_mask:0xf bank_mask:0xf// 000000005F94: 0A3A3AFA FF01599A
	v_mul_f32_dpp v30, v154, v30 row_newbcast:10 row_mask:0xf bank_mask:0xf// 000000005F9C: 0A3C3CFA FF015A9A
	v_mul_f32_dpp v31, v154, v31 row_newbcast:11 row_mask:0xf bank_mask:0xf// 000000005FA4: 0A3E3EFA FF015B9A
	v_pk_mul_f32 v[32:33], v[150:151], v[32:33]                // 000000005FAC: D3B14020 18024196
	v_pk_mul_f32 v[34:35], v[150:151], v[34:35]                // 000000005FB4: D3B14022 18024596
	v_mul_f32_dpp v32, v154, v32 row_newbcast:12 row_mask:0xf bank_mask:0xf// 000000005FBC: 0A4040FA FF015C9A
	v_mul_f32_dpp v33, v154, v33 row_newbcast:13 row_mask:0xf bank_mask:0xf// 000000005FC4: 0A4242FA FF015D9A
	v_mul_f32_dpp v34, v154, v34 row_newbcast:14 row_mask:0xf bank_mask:0xf// 000000005FCC: 0A4444FA FF015E9A
	v_mul_f32_dpp v35, v154, v35 row_newbcast:15 row_mask:0xf bank_mask:0xf// 000000005FD4: 0A4646FA FF015F9A
	v_pk_mul_f32 v[36:37], v[152:153], v[36:37]                // 000000005FDC: D3B14024 18024998
	v_pk_mul_f32 v[38:39], v[152:153], v[38:39]                // 000000005FE4: D3B14026 18024D98
	v_mul_f32_dpp v36, v154, v36 row_newbcast:0 row_mask:0xf bank_mask:0xf// 000000005FEC: 0A4848FA FF01509A
	v_mul_f32_dpp v37, v154, v37 row_newbcast:1 row_mask:0xf bank_mask:0xf// 000000005FF4: 0A4A4AFA FF01519A
	v_mul_f32_dpp v38, v154, v38 row_newbcast:2 row_mask:0xf bank_mask:0xf// 000000005FFC: 0A4C4CFA FF01529A
	v_mul_f32_dpp v39, v154, v39 row_newbcast:3 row_mask:0xf bank_mask:0xf// 000000006004: 0A4E4EFA FF01539A
	v_pk_mul_f32 v[40:41], v[152:153], v[40:41]                // 00000000600C: D3B14028 18025198
	v_pk_mul_f32 v[42:43], v[152:153], v[42:43]                // 000000006014: D3B1402A 18025598
	v_mul_f32_dpp v40, v154, v40 row_newbcast:4 row_mask:0xf bank_mask:0xf// 00000000601C: 0A5050FA FF01549A
	v_mul_f32_dpp v41, v154, v41 row_newbcast:5 row_mask:0xf bank_mask:0xf// 000000006024: 0A5252FA FF01559A
	v_mul_f32_dpp v42, v154, v42 row_newbcast:6 row_mask:0xf bank_mask:0xf// 00000000602C: 0A5454FA FF01569A
	v_mul_f32_dpp v43, v154, v43 row_newbcast:7 row_mask:0xf bank_mask:0xf// 000000006034: 0A5656FA FF01579A
	v_pk_mul_f32 v[44:45], v[152:153], v[44:45]                // 00000000603C: D3B1402C 18025998
	v_pk_mul_f32 v[46:47], v[152:153], v[46:47]                // 000000006044: D3B1402E 18025D98
	v_mul_f32_dpp v44, v154, v44 row_newbcast:8 row_mask:0xf bank_mask:0xf// 00000000604C: 0A5858FA FF01589A
	v_mul_f32_dpp v45, v154, v45 row_newbcast:9 row_mask:0xf bank_mask:0xf// 000000006054: 0A5A5AFA FF01599A
	v_mul_f32_dpp v46, v154, v46 row_newbcast:10 row_mask:0xf bank_mask:0xf// 00000000605C: 0A5C5CFA FF015A9A
	v_mul_f32_dpp v47, v154, v47 row_newbcast:11 row_mask:0xf bank_mask:0xf// 000000006064: 0A5E5EFA FF015B9A
	v_pk_mul_f32 v[48:49], v[152:153], v[48:49]                // 00000000606C: D3B14030 18026198
	v_pk_mul_f32 v[50:51], v[152:153], v[50:51]                // 000000006074: D3B14032 18026598
	v_mul_f32_dpp v48, v154, v48 row_newbcast:12 row_mask:0xf bank_mask:0xf// 00000000607C: 0A6060FA FF015C9A
	v_mul_f32_dpp v49, v154, v49 row_newbcast:13 row_mask:0xf bank_mask:0xf// 000000006084: 0A6262FA FF015D9A
	v_mul_f32_dpp v50, v154, v50 row_newbcast:14 row_mask:0xf bank_mask:0xf// 00000000608C: 0A6464FA FF015E9A
	v_mul_f32_dpp v51, v154, v51 row_newbcast:15 row_mask:0xf bank_mask:0xf// 000000006094: 0A6666FA FF015F9A
	v_mov_b32_e32 v182, v4                                     // 00000000609C: 7F6C0304
	v_max3_f32 v182, v4, v5, v182                              // 0000000060A0: D1D300B6 06DA0B04
	v_max3_f32 v182, v6, v7, v182                              // 0000000060A8: D1D300B6 06DA0F06
	v_max3_f32 v182, v8, v9, v182                              // 0000000060B0: D1D300B6 06DA1308
	v_max3_f32 v182, v10, v11, v182                            // 0000000060B8: D1D300B6 06DA170A
	v_max3_f32 v182, v12, v13, v182                            // 0000000060C0: D1D300B6 06DA1B0C
	v_max3_f32 v182, v14, v15, v182                            // 0000000060C8: D1D300B6 06DA1F0E
	v_max3_f32 v182, v16, v17, v182                            // 0000000060D0: D1D300B6 06DA2310
	v_max3_f32 v182, v18, v19, v182                            // 0000000060D8: D1D300B6 06DA2712
	v_mov_b32_e32 v183, v20                                    // 0000000060E0: 7F6E0314
	v_max3_f32 v183, v20, v21, v183                            // 0000000060E4: D1D300B7 06DE2B14
	v_max3_f32 v183, v22, v23, v183                            // 0000000060EC: D1D300B7 06DE2F16
	v_max3_f32 v183, v24, v25, v183                            // 0000000060F4: D1D300B7 06DE3318
	v_max3_f32 v183, v26, v27, v183                            // 0000000060FC: D1D300B7 06DE371A
	v_max3_f32 v183, v28, v29, v183                            // 000000006104: D1D300B7 06DE3B1C
	v_max3_f32 v183, v30, v31, v183                            // 00000000610C: D1D300B7 06DE3F1E
	v_max3_f32 v183, v32, v33, v183                            // 000000006114: D1D300B7 06DE4320
	v_max3_f32 v183, v34, v35, v183                            // 00000000611C: D1D300B7 06DE4722
	v_mov_b32_e32 v184, v36                                    // 000000006124: 7F700324
	v_max3_f32 v184, v36, v37, v184                            // 000000006128: D1D300B8 06E24B24
	v_max3_f32 v184, v38, v39, v184                            // 000000006130: D1D300B8 06E24F26
	v_max3_f32 v184, v40, v41, v184                            // 000000006138: D1D300B8 06E25328
	v_max3_f32 v184, v42, v43, v184                            // 000000006140: D1D300B8 06E2572A
	v_max3_f32 v184, v44, v45, v184                            // 000000006148: D1D300B8 06E25B2C
	v_max3_f32 v184, v46, v47, v184                            // 000000006150: D1D300B8 06E25F2E
	v_max3_f32 v184, v48, v49, v184                            // 000000006158: D1D300B8 06E26330
	v_max3_f32 v184, v50, v51, v184                            // 000000006160: D1D300B8 06E26732
	ds_bpermute_b32 v188, v208, v182                           // 000000006168: D87E0000 BC00B6D0
	ds_bpermute_b32 v189, v209, v182                           // 000000006170: D87E0000 BD00B6D1
	ds_bpermute_b32 v190, v210, v182                           // 000000006178: D87E0000 BE00B6D2
	ds_bpermute_b32 v191, v208, v183                           // 000000006180: D87E0000 BF00B7D0
	ds_bpermute_b32 v192, v209, v183                           // 000000006188: D87E0000 C000B7D1
	ds_bpermute_b32 v193, v210, v183                           // 000000006190: D87E0000 C100B7D2
	ds_bpermute_b32 v194, v208, v184                           // 000000006198: D87E0000 C200B8D0
	ds_bpermute_b32 v195, v209, v184                           // 0000000061A0: D87E0000 C300B8D1
	ds_bpermute_b32 v196, v210, v184                           // 0000000061A8: D87E0000 C400B8D2
	v_pk_mul_f32 v[124:125], v[170:171], v[124:125]            // 0000000061B0: D3B1407C 1802F9AA
	v_pk_mul_f32 v[126:127], v[170:171], v[126:127]            // 0000000061B8: D3B1407E 1802FDAA
	v_pk_mul_f32 v[128:129], v[170:171], v[128:129]            // 0000000061C0: D3B14080 180301AA
	v_pk_mul_f32 v[130:131], v[170:171], v[130:131]            // 0000000061C8: D3B14082 180305AA
	v_pk_mul_f32 v[132:133], v[172:173], v[132:133]            // 0000000061D0: D3B14084 180309AC
	v_pk_mul_f32 v[134:135], v[172:173], v[134:135]            // 0000000061D8: D3B14086 18030DAC
	v_pk_mul_f32 v[136:137], v[172:173], v[136:137]            // 0000000061E0: D3B14088 180311AC
	v_pk_mul_f32 v[138:139], v[172:173], v[138:139]            // 0000000061E8: D3B1408A 180315AC
	v_pk_mul_f32 v[140:141], v[174:175], v[140:141]            // 0000000061F0: D3B1408C 180319AE
	v_pk_mul_f32 v[142:143], v[174:175], v[142:143]            // 0000000061F8: D3B1408E 18031DAE
	v_pk_mul_f32 v[144:145], v[174:175], v[144:145]            // 000000006200: D3B14090 180321AE
	v_pk_mul_f32 v[146:147], v[174:175], v[146:147]            // 000000006208: D3B14092 180325AE
	s_waitcnt lgkmcnt(6)                                       // 000000006210: BF8CC67F
	v_max3_f32 v182, v188, v189, v182                          // 000000006214: D1D300B6 06DB7BBC
	v_max_f32_e32 v182, v190, v182                             // 00000000621C: 176D6DBE
	s_waitcnt lgkmcnt(3)                                       // 000000006220: BF8CC37F
	v_max3_f32 v183, v191, v192, v183                          // 000000006224: D1D300B7 06DF81BF
	v_max_f32_e32 v183, v193, v183                             // 00000000622C: 176F6FC1
	s_waitcnt lgkmcnt(0)                                       // 000000006230: BF8CC07F
	v_max3_f32 v184, v194, v195, v184                          // 000000006234: D1D300B8 06E387C2
	v_max_f32_e32 v184, v196, v184                             // 00000000623C: 177171C4
	ds_write_b128 v249, v[182:185]                             // 000000006240: D9BE0000 0000B6F9
	s_waitcnt lgkmcnt(0)                                       // 000000006248: BF8CC07F
	s_barrier                                                  // 00000000624C: BF8A0000
	ds_read_b128 v[188:191], v250                              // 000000006250: D9FE0000 BC0000FA
	ds_read_b128 v[192:195], v250 offset:256                   // 000000006258: D9FE0100 C00000FA
	ds_read_b128 v[196:199], v250 offset:512                   // 000000006260: D9FE0200 C40000FA
	ds_read_b128 v[200:203], v250 offset:768                   // 000000006268: D9FE0300 C80000FA
	v_pk_mul_f32 v[100:101], v[158:159], v[100:101]            // 000000006270: D3B14064 1802C99E
	v_pk_mul_f32 v[102:103], v[158:159], v[102:103]            // 000000006278: D3B14066 1802CD9E
	v_pk_mul_f32 v[104:105], v[158:159], v[104:105]            // 000000006280: D3B14068 1802D19E
	v_pk_mul_f32 v[106:107], v[158:159], v[106:107]            // 000000006288: D3B1406A 1802D59E
	v_pk_mul_f32 v[108:109], v[160:161], v[108:109]            // 000000006290: D3B1406C 1802D9A0
	v_pk_mul_f32 v[110:111], v[160:161], v[110:111]            // 000000006298: D3B1406E 1802DDA0
	v_pk_mul_f32 v[112:113], v[160:161], v[112:113]            // 0000000062A0: D3B14070 1802E1A0
	v_pk_mul_f32 v[114:115], v[160:161], v[114:115]            // 0000000062A8: D3B14072 1802E5A0
	v_pk_mul_f32 v[116:117], v[162:163], v[116:117]            // 0000000062B0: D3B14074 1802E9A2
	v_pk_mul_f32 v[118:119], v[162:163], v[118:119]            // 0000000062B8: D3B14076 1802EDA2
	v_pk_mul_f32 v[120:121], v[162:163], v[120:121]            // 0000000062C0: D3B14078 1802F1A2
	v_pk_mul_f32 v[122:123], v[162:163], v[122:123]            // 0000000062C8: D3B1407A 1802F5A2
	s_waitcnt lgkmcnt(0)                                       // 0000000062D0: BF8CC07F
	v_max3_f32 v182, v188, v192, v182                          // 0000000062D4: D1D300B6 06DB81BC
	v_max3_f32 v183, v189, v193, v183                          // 0000000062DC: D1D300B7 06DF83BD
	v_max3_f32 v184, v190, v194, v184                          // 0000000062E4: D1D300B8 06E385BE
	v_max3_f32 v182, v196, v200, v182                          // 0000000062EC: D1D300B6 06DB91C4
	v_max3_f32 v183, v197, v201, v183                          // 0000000062F4: D1D300B7 06DF93C5
	v_max3_f32 v184, v198, v202, v184                          // 0000000062FC: D1D300B8 06E395C6
	v_max_f32_e32 v167, v182, v164                             // 000000006304: 174F49B6
	v_mul_f32_e64 v204, -s46, v167                             // 000000006308: D10500CC 20034E2E
	v_mov_b32_e32 v205, v204                                   // 000000006310: 7F9A03CC
	v_pk_fma_f32 v[4:5], v[4:5], s[46:47], v[204:205]          // 000000006314: D3B04004 1F305D04
	v_pk_fma_f32 v[6:7], v[6:7], s[46:47], v[204:205]          // 00000000631C: D3B04006 1F305D06
	v_exp_f32_e32 v4, v4                                       // 000000006324: 7E084104
	v_exp_f32_e32 v5, v5                                       // 000000006328: 7E0A4105
	v_exp_f32_e32 v6, v6                                       // 00000000632C: 7E0C4106
	v_exp_f32_e32 v7, v7                                       // 000000006330: 7E0E4107
	v_pk_fma_f32 v[8:9], v[8:9], s[46:47], v[204:205]          // 000000006334: D3B04008 1F305D08
	v_pk_fma_f32 v[10:11], v[10:11], s[46:47], v[204:205]      // 00000000633C: D3B0400A 1F305D0A
	v_exp_f32_e32 v8, v8                                       // 000000006344: 7E104108
	v_exp_f32_e32 v9, v9                                       // 000000006348: 7E124109
	v_exp_f32_e32 v10, v10                                     // 00000000634C: 7E14410A
	v_exp_f32_e32 v11, v11                                     // 000000006350: 7E16410B
	v_pk_fma_f32 v[12:13], v[12:13], s[46:47], v[204:205]      // 000000006354: D3B0400C 1F305D0C
	v_pk_fma_f32 v[14:15], v[14:15], s[46:47], v[204:205]      // 00000000635C: D3B0400E 1F305D0E
	v_exp_f32_e32 v12, v12                                     // 000000006364: 7E18410C
	v_exp_f32_e32 v13, v13                                     // 000000006368: 7E1A410D
	v_exp_f32_e32 v14, v14                                     // 00000000636C: 7E1C410E
	v_exp_f32_e32 v15, v15                                     // 000000006370: 7E1E410F
	v_pk_fma_f32 v[16:17], v[16:17], s[46:47], v[204:205]      // 000000006374: D3B04010 1F305D10
	v_pk_fma_f32 v[18:19], v[18:19], s[46:47], v[204:205]      // 00000000637C: D3B04012 1F305D12
	v_exp_f32_e32 v16, v16                                     // 000000006384: 7E204110
	v_exp_f32_e32 v17, v17                                     // 000000006388: 7E224111
	v_exp_f32_e32 v18, v18                                     // 00000000638C: 7E244112
	v_exp_f32_e32 v19, v19                                     // 000000006390: 7E264113
	v_max_f32_e32 v168, v183, v165                             // 000000006394: 17514BB7
	v_mul_f32_e64 v204, -s46, v168                             // 000000006398: D10500CC 2003502E
	v_mov_b32_e32 v205, v204                                   // 0000000063A0: 7F9A03CC
	v_pk_fma_f32 v[20:21], v[20:21], s[46:47], v[204:205]      // 0000000063A4: D3B04014 1F305D14
	v_pk_fma_f32 v[22:23], v[22:23], s[46:47], v[204:205]      // 0000000063AC: D3B04016 1F305D16
	v_exp_f32_e32 v20, v20                                     // 0000000063B4: 7E284114
	v_exp_f32_e32 v21, v21                                     // 0000000063B8: 7E2A4115
	v_exp_f32_e32 v22, v22                                     // 0000000063BC: 7E2C4116
	v_exp_f32_e32 v23, v23                                     // 0000000063C0: 7E2E4117
	v_pk_fma_f32 v[24:25], v[24:25], s[46:47], v[204:205]      // 0000000063C4: D3B04018 1F305D18
	v_pk_fma_f32 v[26:27], v[26:27], s[46:47], v[204:205]      // 0000000063CC: D3B0401A 1F305D1A
	v_exp_f32_e32 v24, v24                                     // 0000000063D4: 7E304118
	v_exp_f32_e32 v25, v25                                     // 0000000063D8: 7E324119
	v_exp_f32_e32 v26, v26                                     // 0000000063DC: 7E34411A
	v_exp_f32_e32 v27, v27                                     // 0000000063E0: 7E36411B
	v_pk_fma_f32 v[28:29], v[28:29], s[46:47], v[204:205]      // 0000000063E4: D3B0401C 1F305D1C
	v_pk_fma_f32 v[30:31], v[30:31], s[46:47], v[204:205]      // 0000000063EC: D3B0401E 1F305D1E
	v_exp_f32_e32 v28, v28                                     // 0000000063F4: 7E38411C
	v_exp_f32_e32 v29, v29                                     // 0000000063F8: 7E3A411D
	v_exp_f32_e32 v30, v30                                     // 0000000063FC: 7E3C411E
	v_exp_f32_e32 v31, v31                                     // 000000006400: 7E3E411F
	v_pk_fma_f32 v[32:33], v[32:33], s[46:47], v[204:205]      // 000000006404: D3B04020 1F305D20
	v_pk_fma_f32 v[34:35], v[34:35], s[46:47], v[204:205]      // 00000000640C: D3B04022 1F305D22
	v_exp_f32_e32 v32, v32                                     // 000000006414: 7E404120
	v_exp_f32_e32 v33, v33                                     // 000000006418: 7E424121
	v_exp_f32_e32 v34, v34                                     // 00000000641C: 7E444122
	v_exp_f32_e32 v35, v35                                     // 000000006420: 7E464123
	v_max_f32_e32 v169, v184, v166                             // 000000006424: 17534DB8
	v_mul_f32_e64 v204, -s46, v169                             // 000000006428: D10500CC 2003522E
	v_mov_b32_e32 v205, v204                                   // 000000006430: 7F9A03CC
	v_pk_fma_f32 v[36:37], v[36:37], s[46:47], v[204:205]      // 000000006434: D3B04024 1F305D24
	v_pk_fma_f32 v[38:39], v[38:39], s[46:47], v[204:205]      // 00000000643C: D3B04026 1F305D26
	v_exp_f32_e32 v36, v36                                     // 000000006444: 7E484124
	v_exp_f32_e32 v37, v37                                     // 000000006448: 7E4A4125
	v_exp_f32_e32 v38, v38                                     // 00000000644C: 7E4C4126
	v_exp_f32_e32 v39, v39                                     // 000000006450: 7E4E4127
	v_pk_fma_f32 v[40:41], v[40:41], s[46:47], v[204:205]      // 000000006454: D3B04028 1F305D28
	v_pk_fma_f32 v[42:43], v[42:43], s[46:47], v[204:205]      // 00000000645C: D3B0402A 1F305D2A
	v_exp_f32_e32 v40, v40                                     // 000000006464: 7E504128
	v_exp_f32_e32 v41, v41                                     // 000000006468: 7E524129
	v_exp_f32_e32 v42, v42                                     // 00000000646C: 7E54412A
	v_exp_f32_e32 v43, v43                                     // 000000006470: 7E56412B
	v_pk_fma_f32 v[44:45], v[44:45], s[46:47], v[204:205]      // 000000006474: D3B0402C 1F305D2C
	v_pk_fma_f32 v[46:47], v[46:47], s[46:47], v[204:205]      // 00000000647C: D3B0402E 1F305D2E
	v_exp_f32_e32 v44, v44                                     // 000000006484: 7E58412C
	v_exp_f32_e32 v45, v45                                     // 000000006488: 7E5A412D
	v_exp_f32_e32 v46, v46                                     // 00000000648C: 7E5C412E
	v_exp_f32_e32 v47, v47                                     // 000000006490: 7E5E412F
	v_pk_fma_f32 v[48:49], v[48:49], s[46:47], v[204:205]      // 000000006494: D3B04030 1F305D30
	v_pk_fma_f32 v[50:51], v[50:51], s[46:47], v[204:205]      // 00000000649C: D3B04032 1F305D32
	v_exp_f32_e32 v48, v48                                     // 0000000064A4: 7E604130
	v_exp_f32_e32 v49, v49                                     // 0000000064A8: 7E624131
	v_exp_f32_e32 v50, v50                                     // 0000000064AC: 7E644132
	v_exp_f32_e32 v51, v51                                     // 0000000064B0: 7E664133
	v_mul_f32_dpp v52, v156, v4 row_newbcast:0 row_mask:0xf bank_mask:0xf// 0000000064B4: 0A6808FA FF01509C
	v_mul_f32_dpp v53, v156, v5 row_newbcast:1 row_mask:0xf bank_mask:0xf// 0000000064BC: 0A6A0AFA FF01519C
	v_mul_f32_dpp v54, v156, v6 row_newbcast:2 row_mask:0xf bank_mask:0xf// 0000000064C4: 0A6C0CFA FF01529C
	v_mul_f32_dpp v55, v156, v7 row_newbcast:3 row_mask:0xf bank_mask:0xf// 0000000064CC: 0A6E0EFA FF01539C
	v_mul_f32_dpp v56, v156, v8 row_newbcast:4 row_mask:0xf bank_mask:0xf// 0000000064D4: 0A7010FA FF01549C
	v_mul_f32_dpp v57, v156, v9 row_newbcast:5 row_mask:0xf bank_mask:0xf// 0000000064DC: 0A7212FA FF01559C
	v_mul_f32_dpp v58, v156, v10 row_newbcast:6 row_mask:0xf bank_mask:0xf// 0000000064E4: 0A7414FA FF01569C
	v_mul_f32_dpp v59, v156, v11 row_newbcast:7 row_mask:0xf bank_mask:0xf// 0000000064EC: 0A7616FA FF01579C
	v_mul_f32_dpp v60, v156, v12 row_newbcast:8 row_mask:0xf bank_mask:0xf// 0000000064F4: 0A7818FA FF01589C
	v_mul_f32_dpp v61, v156, v13 row_newbcast:9 row_mask:0xf bank_mask:0xf// 0000000064FC: 0A7A1AFA FF01599C
	v_mul_f32_dpp v62, v156, v14 row_newbcast:10 row_mask:0xf bank_mask:0xf// 000000006504: 0A7C1CFA FF015A9C
	v_mul_f32_dpp v63, v156, v15 row_newbcast:11 row_mask:0xf bank_mask:0xf// 00000000650C: 0A7E1EFA FF015B9C
	v_mul_f32_dpp v64, v156, v16 row_newbcast:12 row_mask:0xf bank_mask:0xf// 000000006514: 0A8020FA FF015C9C
	v_mul_f32_dpp v65, v156, v17 row_newbcast:13 row_mask:0xf bank_mask:0xf// 00000000651C: 0A8222FA FF015D9C
	v_mul_f32_dpp v66, v156, v18 row_newbcast:14 row_mask:0xf bank_mask:0xf// 000000006524: 0A8424FA FF015E9C
	v_mul_f32_dpp v67, v156, v19 row_newbcast:15 row_mask:0xf bank_mask:0xf// 00000000652C: 0A8626FA FF015F9C
	v_mul_f32_dpp v68, v156, v20 row_newbcast:0 row_mask:0xf bank_mask:0xf// 000000006534: 0A8828FA FF01509C
	v_mul_f32_dpp v69, v156, v21 row_newbcast:1 row_mask:0xf bank_mask:0xf// 00000000653C: 0A8A2AFA FF01519C
	v_mul_f32_dpp v70, v156, v22 row_newbcast:2 row_mask:0xf bank_mask:0xf// 000000006544: 0A8C2CFA FF01529C
	v_mul_f32_dpp v71, v156, v23 row_newbcast:3 row_mask:0xf bank_mask:0xf// 00000000654C: 0A8E2EFA FF01539C
	v_mul_f32_dpp v72, v156, v24 row_newbcast:4 row_mask:0xf bank_mask:0xf// 000000006554: 0A9030FA FF01549C
	v_mul_f32_dpp v73, v156, v25 row_newbcast:5 row_mask:0xf bank_mask:0xf// 00000000655C: 0A9232FA FF01559C
	v_mul_f32_dpp v74, v156, v26 row_newbcast:6 row_mask:0xf bank_mask:0xf// 000000006564: 0A9434FA FF01569C
	v_mul_f32_dpp v75, v156, v27 row_newbcast:7 row_mask:0xf bank_mask:0xf// 00000000656C: 0A9636FA FF01579C
	v_mul_f32_dpp v76, v156, v28 row_newbcast:8 row_mask:0xf bank_mask:0xf// 000000006574: 0A9838FA FF01589C
	v_mul_f32_dpp v77, v156, v29 row_newbcast:9 row_mask:0xf bank_mask:0xf// 00000000657C: 0A9A3AFA FF01599C
	v_mul_f32_dpp v78, v156, v30 row_newbcast:10 row_mask:0xf bank_mask:0xf// 000000006584: 0A9C3CFA FF015A9C
	v_mul_f32_dpp v79, v156, v31 row_newbcast:11 row_mask:0xf bank_mask:0xf// 00000000658C: 0A9E3EFA FF015B9C
	v_mul_f32_dpp v80, v156, v32 row_newbcast:12 row_mask:0xf bank_mask:0xf// 000000006594: 0AA040FA FF015C9C
	v_mul_f32_dpp v81, v156, v33 row_newbcast:13 row_mask:0xf bank_mask:0xf// 00000000659C: 0AA242FA FF015D9C
	v_mul_f32_dpp v82, v156, v34 row_newbcast:14 row_mask:0xf bank_mask:0xf// 0000000065A4: 0AA444FA FF015E9C
	v_mul_f32_dpp v83, v156, v35 row_newbcast:15 row_mask:0xf bank_mask:0xf// 0000000065AC: 0AA646FA FF015F9C
	v_mul_f32_dpp v84, v156, v36 row_newbcast:0 row_mask:0xf bank_mask:0xf// 0000000065B4: 0AA848FA FF01509C
	v_mul_f32_dpp v85, v156, v37 row_newbcast:1 row_mask:0xf bank_mask:0xf// 0000000065BC: 0AAA4AFA FF01519C
	v_mul_f32_dpp v86, v156, v38 row_newbcast:2 row_mask:0xf bank_mask:0xf// 0000000065C4: 0AAC4CFA FF01529C
	v_mul_f32_dpp v87, v156, v39 row_newbcast:3 row_mask:0xf bank_mask:0xf// 0000000065CC: 0AAE4EFA FF01539C
	v_mul_f32_dpp v88, v156, v40 row_newbcast:4 row_mask:0xf bank_mask:0xf// 0000000065D4: 0AB050FA FF01549C
	v_mul_f32_dpp v89, v156, v41 row_newbcast:5 row_mask:0xf bank_mask:0xf// 0000000065DC: 0AB252FA FF01559C
	v_mul_f32_dpp v90, v156, v42 row_newbcast:6 row_mask:0xf bank_mask:0xf// 0000000065E4: 0AB454FA FF01569C
	v_mul_f32_dpp v91, v156, v43 row_newbcast:7 row_mask:0xf bank_mask:0xf// 0000000065EC: 0AB656FA FF01579C
	v_mul_f32_dpp v92, v156, v44 row_newbcast:8 row_mask:0xf bank_mask:0xf// 0000000065F4: 0AB858FA FF01589C
	v_mul_f32_dpp v93, v156, v45 row_newbcast:9 row_mask:0xf bank_mask:0xf// 0000000065FC: 0ABA5AFA FF01599C
	v_mul_f32_dpp v94, v156, v46 row_newbcast:10 row_mask:0xf bank_mask:0xf// 000000006604: 0ABC5CFA FF015A9C
	v_mul_f32_dpp v95, v156, v47 row_newbcast:11 row_mask:0xf bank_mask:0xf// 00000000660C: 0ABE5EFA FF015B9C
	v_mul_f32_dpp v96, v156, v48 row_newbcast:12 row_mask:0xf bank_mask:0xf// 000000006614: 0AC060FA FF015C9C
	v_mul_f32_dpp v97, v156, v49 row_newbcast:13 row_mask:0xf bank_mask:0xf// 00000000661C: 0AC262FA FF015D9C
	v_mul_f32_dpp v98, v156, v50 row_newbcast:14 row_mask:0xf bank_mask:0xf// 000000006624: 0AC464FA FF015E9C
	v_mul_f32_dpp v99, v156, v51 row_newbcast:15 row_mask:0xf bank_mask:0xf// 00000000662C: 0AC666FA FF015F9C
	v_mov_b32_e32 v182, 0x358637bd                             // 000000006634: 7F6C02FF 358637BD
	v_max3_f32 v182, |v52|, |v53|, v182                        // 00000000663C: D1D303B6 06DA6B34
	v_max3_f32 v182, |v54|, |v55|, v182                        // 000000006644: D1D303B6 06DA6F36
	v_max3_f32 v182, |v56|, |v57|, v182                        // 00000000664C: D1D303B6 06DA7338
	v_max3_f32 v182, |v58|, |v59|, v182                        // 000000006654: D1D303B6 06DA773A
	v_max3_f32 v182, |v60|, |v61|, v182                        // 00000000665C: D1D303B6 06DA7B3C
	v_max3_f32 v182, |v62|, |v63|, v182                        // 000000006664: D1D303B6 06DA7F3E
	v_max3_f32 v182, |v64|, |v65|, v182                        // 00000000666C: D1D303B6 06DA8340
	v_max3_f32 v182, |v66|, |v67|, v182                        // 000000006674: D1D303B6 06DA8742
	v_mov_b32_e32 v183, 0x358637bd                             // 00000000667C: 7F6E02FF 358637BD
	v_max3_f32 v183, |v68|, |v69|, v183                        // 000000006684: D1D303B7 06DE8B44
	v_max3_f32 v183, |v70|, |v71|, v183                        // 00000000668C: D1D303B7 06DE8F46
	v_max3_f32 v183, |v72|, |v73|, v183                        // 000000006694: D1D303B7 06DE9348
	v_max3_f32 v183, |v74|, |v75|, v183                        // 00000000669C: D1D303B7 06DE974A
	v_max3_f32 v183, |v76|, |v77|, v183                        // 0000000066A4: D1D303B7 06DE9B4C
	v_max3_f32 v183, |v78|, |v79|, v183                        // 0000000066AC: D1D303B7 06DE9F4E
	v_max3_f32 v183, |v80|, |v81|, v183                        // 0000000066B4: D1D303B7 06DEA350
	v_max3_f32 v183, |v82|, |v83|, v183                        // 0000000066BC: D1D303B7 06DEA752
	v_mov_b32_e32 v184, 0x358637bd                             // 0000000066C4: 7F7002FF 358637BD
	v_max3_f32 v184, |v84|, |v85|, v184                        // 0000000066CC: D1D303B8 06E2AB54
	v_max3_f32 v184, |v86|, |v87|, v184                        // 0000000066D4: D1D303B8 06E2AF56
	v_max3_f32 v184, |v88|, |v89|, v184                        // 0000000066DC: D1D303B8 06E2B358
	v_max3_f32 v184, |v90|, |v91|, v184                        // 0000000066E4: D1D303B8 06E2B75A
	v_max3_f32 v184, |v92|, |v93|, v184                        // 0000000066EC: D1D303B8 06E2BB5C
	v_max3_f32 v184, |v94|, |v95|, v184                        // 0000000066F4: D1D303B8 06E2BF5E
	v_max3_f32 v184, |v96|, |v97|, v184                        // 0000000066FC: D1D303B8 06E2C360
	v_max3_f32 v184, |v98|, |v99|, v184                        // 000000006704: D1D303B8 06E2C762
	ds_bpermute_b32 v188, v208, v182                           // 00000000670C: D87E0000 BC00B6D0
	ds_bpermute_b32 v189, v209, v182                           // 000000006714: D87E0000 BD00B6D1
	ds_bpermute_b32 v190, v210, v182                           // 00000000671C: D87E0000 BE00B6D2
	ds_bpermute_b32 v191, v208, v183                           // 000000006724: D87E0000 BF00B7D0
	ds_bpermute_b32 v192, v209, v183                           // 00000000672C: D87E0000 C000B7D1
	ds_bpermute_b32 v193, v210, v183                           // 000000006734: D87E0000 C100B7D2
	ds_bpermute_b32 v194, v208, v184                           // 00000000673C: D87E0000 C200B8D0
	ds_bpermute_b32 v195, v209, v184                           // 000000006744: D87E0000 C300B8D1
	ds_bpermute_b32 v196, v210, v184                           // 00000000674C: D87E0000 C400B8D2
	s_waitcnt lgkmcnt(6)                                       // 000000006754: BF8CC67F
	v_max3_f32 v182, v188, v189, v182                          // 000000006758: D1D300B6 06DB7BBC
	v_max_f32_e32 v182, v190, v182                             // 000000006760: 176D6DBE
	s_waitcnt lgkmcnt(3)                                       // 000000006764: BF8CC37F
	v_max3_f32 v183, v191, v192, v183                          // 000000006768: D1D300B7 06DF81BF
	v_max_f32_e32 v183, v193, v183                             // 000000006770: 176F6FC1
	s_waitcnt lgkmcnt(0)                                       // 000000006774: BF8CC07F
	v_max3_f32 v184, v194, v195, v184                          // 000000006778: D1D300B8 06E387C2
	v_max_f32_e32 v184, v196, v184                             // 000000006780: 177171C4
	ds_write_b128 v249, v[182:185] offset:4096                 // 000000006784: D9BE1000 0000B6F9
	buffer_load_dword v155, v235, s[20:23], 0 offen            // 00000000678C: E0501000 80059BEB
	v_sub_f32_e32 v170, v164, v167                             // 000000006794: 05554FA4
	v_cmp_eq_u32_e64 s[98:99], v222, v164                      // 000000006798: D0CA0062 000349DE
	v_cndmask_b32_e64 v170, v170, 0, s[98:99]                  // 0000000067A0: D10000AA 018901AA
	v_mov_b32_e32 v164, v167                                   // 0000000067A8: 7F4803A7
	v_mul_f32_e32 v170, s46, v170                              // 0000000067AC: 0B55542E
	v_exp_f32_e32 v170, v170                                   // 0000000067B0: 7F5441AA
	v_sub_f32_e32 v172, v165, v168                             // 0000000067B4: 055951A5
	v_cmp_eq_u32_e64 s[98:99], v222, v165                      // 0000000067B8: D0CA0062 00034BDE
	v_cndmask_b32_e64 v172, v172, 0, s[98:99]                  // 0000000067C0: D10000AC 018901AC
	v_mov_b32_e32 v165, v168                                   // 0000000067C8: 7F4A03A8
	v_mul_f32_e32 v172, s46, v172                              // 0000000067CC: 0B59582E
	v_exp_f32_e32 v172, v172                                   // 0000000067D0: 7F5841AC
	v_sub_f32_e32 v174, v166, v169                             // 0000000067D4: 055D53A6
	v_cmp_eq_u32_e64 s[98:99], v222, v166                      // 0000000067D8: D0CA0062 00034DDE
	v_cndmask_b32_e64 v174, v174, 0, s[98:99]                  // 0000000067E0: D10000AE 018901AE
	v_mov_b32_e32 v166, v169                                   // 0000000067E8: 7F4C03A9
	v_mul_f32_e32 v174, s46, v174                              // 0000000067EC: 0B5D5C2E
	v_exp_f32_e32 v174, v174                                   // 0000000067F0: 7F5C41AE
	v_mov_b32_e32 v171, v170                                   // 0000000067F4: 7F5603AA
	v_mov_b32_e32 v173, v172                                   // 0000000067F8: 7F5A03AC
	v_mov_b32_e32 v175, v174                                   // 0000000067FC: 7F5E03AE
	s_waitcnt lgkmcnt(0)                                       // 000000006800: BF8CC07F
	s_barrier                                                  // 000000006804: BF8A0000
	ds_read_b128 v[188:191], v250 offset:4096                  // 000000006808: D9FE1000 BC0000FA
	ds_read_b128 v[192:195], v250 offset:4352                  // 000000006810: D9FE1100 C00000FA
	ds_read_b128 v[196:199], v250 offset:4608                  // 000000006818: D9FE1200 C40000FA
	ds_read_b128 v[200:203], v250 offset:4864                  // 000000006820: D9FE1300 C80000FA
	buffer_load_dword v157, v236, s[24:27], 0 offen            // 000000006828: E0501000 80069DEC
	v_mul_f32_e32 v176, v170, v176                             // 000000006830: 0B6161AA
	v_mov_b32_e32 v177, 0                                      // 000000006834: 7F620280
	v_pk_add_f32 v[176:177], v[4:5], v[176:177]                // 000000006838: D3B240B0 18036104
	v_pk_add_f32 v[176:177], v[6:7], v[176:177]                // 000000006840: D3B240B0 18036106
	;; [unrolled: 1-line block ×3, first 2 shown]
	v_pk_add_f32 v[176:177], v[10:11], v[176:177]              // 000000006850: D3B240B0 1803610A
	v_pk_add_f32 v[176:177], v[12:13], v[176:177]              // 000000006858: D3B240B0 1803610C
	v_pk_add_f32 v[176:177], v[14:15], v[176:177]              // 000000006860: D3B240B0 1803610E
	v_pk_add_f32 v[176:177], v[16:17], v[176:177]              // 000000006868: D3B240B0 18036110
	v_pk_add_f32 v[176:177], v[18:19], v[176:177]              // 000000006870: D3B240B0 18036112
	v_add_f32_e32 v176, v177, v176                             // 000000006878: 036161B1
	v_mul_f32_e32 v178, v172, v178                             // 00000000687C: 0B6565AC
	v_mov_b32_e32 v179, 0                                      // 000000006880: 7F660280
	v_pk_add_f32 v[178:179], v[20:21], v[178:179]              // 000000006884: D3B240B2 18036514
	v_pk_add_f32 v[178:179], v[22:23], v[178:179]              // 00000000688C: D3B240B2 18036516
	v_pk_add_f32 v[178:179], v[24:25], v[178:179]              // 000000006894: D3B240B2 18036518
	v_pk_add_f32 v[178:179], v[26:27], v[178:179]              // 00000000689C: D3B240B2 1803651A
	v_pk_add_f32 v[178:179], v[28:29], v[178:179]              // 0000000068A4: D3B240B2 1803651C
	v_pk_add_f32 v[178:179], v[30:31], v[178:179]              // 0000000068AC: D3B240B2 1803651E
	v_pk_add_f32 v[178:179], v[32:33], v[178:179]              // 0000000068B4: D3B240B2 18036520
	v_pk_add_f32 v[178:179], v[34:35], v[178:179]              // 0000000068BC: D3B240B2 18036522
	v_add_f32_e32 v178, v179, v178                             // 0000000068C4: 036565B3
	v_mul_f32_e32 v180, v174, v180                             // 0000000068C8: 0B6969AE
	v_mov_b32_e32 v181, 0                                      // 0000000068CC: 7F6A0280
	v_pk_add_f32 v[180:181], v[36:37], v[180:181]              // 0000000068D0: D3B240B4 18036924
	v_pk_add_f32 v[180:181], v[38:39], v[180:181]              // 0000000068D8: D3B240B4 18036926
	v_pk_add_f32 v[180:181], v[40:41], v[180:181]              // 0000000068E0: D3B240B4 18036928
	v_pk_add_f32 v[180:181], v[42:43], v[180:181]              // 0000000068E8: D3B240B4 1803692A
	v_pk_add_f32 v[180:181], v[44:45], v[180:181]              // 0000000068F0: D3B240B4 1803692C
	v_pk_add_f32 v[180:181], v[46:47], v[180:181]              // 0000000068F8: D3B240B4 1803692E
	v_pk_add_f32 v[180:181], v[48:49], v[180:181]              // 000000006900: D3B240B4 18036930
	v_pk_add_f32 v[180:181], v[50:51], v[180:181]              // 000000006908: D3B240B4 18036932
	v_add_f32_e32 v180, v181, v180                             // 000000006910: 036969B5
	s_waitcnt lgkmcnt(0)                                       // 000000006914: BF8CC07F
	v_max3_f32 v182, v188, v192, v182                          // 000000006918: D1D300B6 06DB81BC
	v_max3_f32 v183, v189, v193, v183                          // 000000006920: D1D300B7 06DF83BD
	v_max3_f32 v184, v190, v194, v184                          // 000000006928: D1D300B8 06E385BE
	v_max3_f32 v182, v196, v200, v182                          // 000000006930: D1D300B6 06DB91C4
	v_max3_f32 v183, v197, v201, v183                          // 000000006938: D1D300B7 06DF93C5
	v_max3_f32 v184, v198, v202, v184                          // 000000006940: D1D300B8 06E395C6
	v_rcp_f32_e32 v182, v182                                   // 000000006948: 7F6C45B6
	v_rcp_f32_e32 v183, v183                                   // 00000000694C: 7F6E45B7
	v_rcp_f32_e32 v184, v184                                   // 000000006950: 7F7045B8
	v_mul_f32_e32 v182, 0x43700000, v182                       // 000000006954: 0B6D6CFF 43700000
	v_mul_f32_e32 v183, 0x43700000, v183                       // 00000000695C: 0B6F6EFF 43700000
	v_mul_f32_e32 v184, 0x43700000, v184                       // 000000006964: 0B7170FF 43700000
	v_mov_b32_e32 v186, v184                                   // 00000000696C: 7F7403B8
	v_mov_b32_e32 v187, v184                                   // 000000006970: 7F7603B8
	v_mov_b32_e32 v184, v183                                   // 000000006974: 7F7003B7
	v_mov_b32_e32 v185, v183                                   // 000000006978: 7F7203B7
	v_mov_b32_e32 v183, v182                                   // 00000000697C: 7F6E03B6
	v_pk_mul_f32 v[4:5], v[182:183], v[52:53]                  // 000000006980: D3B14004 180269B6
	v_pk_mul_f32 v[6:7], v[182:183], v[54:55]                  // 000000006988: D3B14006 18026DB6
	v_pk_mul_f32 v[8:9], v[182:183], v[56:57]                  // 000000006990: D3B14008 180271B6
	v_pk_mul_f32 v[10:11], v[182:183], v[58:59]                // 000000006998: D3B1400A 180275B6
	v_pk_mul_f32 v[12:13], v[182:183], v[60:61]                // 0000000069A0: D3B1400C 180279B6
	v_pk_mul_f32 v[14:15], v[182:183], v[62:63]                // 0000000069A8: D3B1400E 18027DB6
	v_pk_mul_f32 v[16:17], v[182:183], v[64:65]                // 0000000069B0: D3B14010 180281B6
	v_pk_mul_f32 v[18:19], v[182:183], v[66:67]                // 0000000069B8: D3B14012 180285B6
	v_pk_mul_f32 v[20:21], v[184:185], v[68:69]                // 0000000069C0: D3B14014 180289B8
	v_pk_mul_f32 v[22:23], v[184:185], v[70:71]                // 0000000069C8: D3B14016 18028DB8
	v_pk_mul_f32 v[24:25], v[184:185], v[72:73]                // 0000000069D0: D3B14018 180291B8
	v_pk_mul_f32 v[26:27], v[184:185], v[74:75]                // 0000000069D8: D3B1401A 180295B8
	v_pk_mul_f32 v[28:29], v[184:185], v[76:77]                // 0000000069E0: D3B1401C 180299B8
	v_pk_mul_f32 v[30:31], v[184:185], v[78:79]                // 0000000069E8: D3B1401E 18029DB8
	v_pk_mul_f32 v[32:33], v[184:185], v[80:81]                // 0000000069F0: D3B14020 1802A1B8
	v_pk_mul_f32 v[34:35], v[184:185], v[82:83]                // 0000000069F8: D3B14022 1802A5B8
	v_pk_mul_f32 v[36:37], v[186:187], v[84:85]                // 000000006A00: D3B14024 1802A9BA
	v_pk_mul_f32 v[38:39], v[186:187], v[86:87]                // 000000006A08: D3B14026 1802ADBA
	v_pk_mul_f32 v[40:41], v[186:187], v[88:89]                // 000000006A10: D3B14028 1802B1BA
	v_pk_mul_f32 v[42:43], v[186:187], v[90:91]                // 000000006A18: D3B1402A 1802B5BA
	v_pk_mul_f32 v[44:45], v[186:187], v[92:93]                // 000000006A20: D3B1402C 1802B9BA
	v_pk_mul_f32 v[46:47], v[186:187], v[94:95]                // 000000006A28: D3B1402E 1802BDBA
	v_pk_mul_f32 v[48:49], v[186:187], v[96:97]                // 000000006A30: D3B14030 1802C1BA
	v_pk_mul_f32 v[50:51], v[186:187], v[98:99]                // 000000006A38: D3B14032 1802C5BA
	v_cvt_pk_fp8_f32 v4, v4, v5                                // 000000006A40: D2A20004 00020B04
	v_cvt_pk_fp8_f32 v4, v6, v7 op_sel:[0,0,1]                 // 000000006A48: D2A24004 00020F06
	v_cvt_pk_fp8_f32 v5, v8, v9                                // 000000006A50: D2A20005 00021308
	v_cvt_pk_fp8_f32 v5, v10, v11 op_sel:[0,0,1]               // 000000006A58: D2A24005 0002170A
	v_cvt_pk_fp8_f32 v6, v12, v13                              // 000000006A60: D2A20006 00021B0C
	v_cvt_pk_fp8_f32 v6, v14, v15 op_sel:[0,0,1]               // 000000006A68: D2A24006 00021F0E
	v_cvt_pk_fp8_f32 v7, v16, v17                              // 000000006A70: D2A20007 00022310
	v_cvt_pk_fp8_f32 v7, v18, v19 op_sel:[0,0,1]               // 000000006A78: D2A24007 00022712
	v_cvt_pk_fp8_f32 v8, v20, v21                              // 000000006A80: D2A20008 00022B14
	v_cvt_pk_fp8_f32 v8, v22, v23 op_sel:[0,0,1]               // 000000006A88: D2A24008 00022F16
	v_cvt_pk_fp8_f32 v9, v24, v25                              // 000000006A90: D2A20009 00023318
	v_cvt_pk_fp8_f32 v9, v26, v27 op_sel:[0,0,1]               // 000000006A98: D2A24009 0002371A
	v_cvt_pk_fp8_f32 v10, v28, v29                             // 000000006AA0: D2A2000A 00023B1C
	v_cvt_pk_fp8_f32 v10, v30, v31 op_sel:[0,0,1]              // 000000006AA8: D2A2400A 00023F1E
	v_cvt_pk_fp8_f32 v11, v32, v33                             // 000000006AB0: D2A2000B 00024320
	v_cvt_pk_fp8_f32 v11, v34, v35 op_sel:[0,0,1]              // 000000006AB8: D2A2400B 00024722
	v_cvt_pk_fp8_f32 v12, v36, v37                             // 000000006AC0: D2A2000C 00024B24
	v_cvt_pk_fp8_f32 v12, v38, v39 op_sel:[0,0,1]              // 000000006AC8: D2A2400C 00024F26
	v_cvt_pk_fp8_f32 v13, v40, v41                             // 000000006AD0: D2A2000D 00025328
	v_cvt_pk_fp8_f32 v13, v42, v43 op_sel:[0,0,1]              // 000000006AD8: D2A2400D 0002572A
	v_cvt_pk_fp8_f32 v14, v44, v45                             // 000000006AE0: D2A2000E 00025B2C
	v_cvt_pk_fp8_f32 v14, v46, v47 op_sel:[0,0,1]              // 000000006AE8: D2A2400E 00025F2E
	v_cvt_pk_fp8_f32 v15, v48, v49                             // 000000006AF0: D2A2000F 00026330
	v_cvt_pk_fp8_f32 v15, v50, v51 op_sel:[0,0,1]              // 000000006AF8: D2A2400F 00026732
	ds_write_b32 v251, v4 offset:8192                          // 000000006B00: D81A2000 000004FB
	ds_write_b32 v251, v5 offset:9216                          // 000000006B08: D81A2400 000005FB
	ds_write_b32 v251, v6 offset:10240                         // 000000006B10: D81A2800 000006FB
	ds_write_b32 v251, v7 offset:11264                         // 000000006B18: D81A2C00 000007FB
	ds_write_b32 v251, v8 offset:12288                         // 000000006B20: D81A3000 000008FB
	ds_write_b32 v251, v9 offset:13312                         // 000000006B28: D81A3400 000009FB
	ds_write_b32 v251, v10 offset:14336                        // 000000006B30: D81A3800 00000AFB
	ds_write_b32 v251, v11 offset:15360                        // 000000006B38: D81A3C00 00000BFB
	ds_write_b32 v251, v12 offset:16384                        // 000000006B40: D81A4000 00000CFB
	ds_write_b32 v251, v13 offset:17408                        // 000000006B48: D81A4400 00000DFB
	ds_write_b32 v251, v14 offset:18432                        // 000000006B50: D81A4800 00000EFB
	ds_write_b32 v251, v15 offset:19456                        // 000000006B58: D81A4C00 00000FFB
	v_rcp_f32_e32 v158, v182                                   // 000000006B60: 7F3C45B6
	v_rcp_f32_e32 v160, v184                                   // 000000006B64: 7F4045B8
	v_rcp_f32_e32 v162, v186                                   // 000000006B68: 7F4445BA
	v_mov_b32_e32 v159, v158                                   // 000000006B6C: 7F3E039E
	v_mov_b32_e32 v161, v160                                   // 000000006B70: 7F4203A0
	v_mov_b32_e32 v163, v162                                   // 000000006B74: 7F4603A2
	v_pk_add_f32 v[124:125], v[124:125], v[100:101]            // 000000006B78: D3B2407C 1802C97C
	v_pk_add_f32 v[126:127], v[126:127], v[102:103]            // 000000006B80: D3B2407E 1802CD7E
	v_pk_add_f32 v[128:129], v[128:129], v[104:105]            // 000000006B88: D3B24080 1802D180
	v_pk_add_f32 v[130:131], v[130:131], v[106:107]            // 000000006B90: D3B24082 1802D582
	v_pk_add_f32 v[132:133], v[132:133], v[108:109]            // 000000006B98: D3B24084 1802D984
	v_pk_add_f32 v[134:135], v[134:135], v[110:111]            // 000000006BA0: D3B24086 1802DD86
	v_pk_add_f32 v[136:137], v[136:137], v[112:113]            // 000000006BA8: D3B24088 1802E188
	v_pk_add_f32 v[138:139], v[138:139], v[114:115]            // 000000006BB0: D3B2408A 1802E58A
	v_pk_add_f32 v[140:141], v[140:141], v[116:117]            // 000000006BB8: D3B2408C 1802E98C
	v_pk_add_f32 v[142:143], v[142:143], v[118:119]            // 000000006BC0: D3B2408E 1802ED8E
	v_pk_add_f32 v[144:145], v[144:145], v[120:121]            // 000000006BC8: D3B24090 1802F190
	v_pk_add_f32 v[146:147], v[146:147], v[122:123]            // 000000006BD0: D3B24092 1802F592
	s_waitcnt lgkmcnt(0)                                       // 000000006BD8: BF8CC07F
	s_barrier                                                  // 000000006BDC: BF8A0000
	ds_read_b128 v[4:7], v252 offset:8192                      // 000000006BE0: D9FE2000 040000FC
	ds_read_b128 v[8:11], v252 offset:9216                     // 000000006BE8: D9FE2400 080000FC
	ds_read_b128 v[12:15], v252 offset:10240                   // 000000006BF0: D9FE2800 0C0000FC
	ds_read_b128 v[16:19], v252 offset:11264                   // 000000006BF8: D9FE2C00 100000FC
	ds_read_b128 v[20:23], v252 offset:12288                   // 000000006C00: D9FE3000 140000FC
	ds_read_b128 v[24:27], v252 offset:13312                   // 000000006C08: D9FE3400 180000FC
	ds_read_b128 v[28:31], v252 offset:14336                   // 000000006C10: D9FE3800 1C0000FC
	ds_read_b128 v[32:35], v252 offset:15360                   // 000000006C18: D9FE3C00 200000FC
	ds_read_b128 v[36:39], v252 offset:16384                   // 000000006C20: D9FE4000 240000FC
	ds_read_b128 v[40:43], v252 offset:17408                   // 000000006C28: D9FE4400 280000FC
	ds_read_b128 v[44:47], v252 offset:18432                   // 000000006C30: D9FE4800 2C0000FC
	ds_read_b128 v[48:51], v252 offset:19456                   // 000000006C38: D9FE4C00 300000FC
	s_waitcnt vmcnt(10)                                        // 000000006C40: BF8C0F7A
	s_waitcnt lgkmcnt(11)                                      // 000000006C44: BF8CCB7F
	v_mfma_f32_16x16x32_fp8_fp8 v[100:103], a[88:89], v[4:5], 0// 000000006C48: D3F30064 0A020958
	v_mfma_f32_16x16x32_fp8_fp8 v[104:107], a[104:105], v[4:5], 0// 000000006C50: D3F30068 0A020968
	v_mfma_f32_16x16x32_fp8_fp8 v[100:103], a[90:91], v[6:7], v[100:103]// 000000006C58: D3F30064 0D920D5A
	buffer_load_dwordx4 a[120:123], v231, s[16:19], 0 offen    // 000000006C60: E05C1000 808478E7
	v_mfma_f32_16x16x32_fp8_fp8 v[104:107], a[106:107], v[6:7], v[104:107]// 000000006C68: D3F30068 0DA20D6A
	s_waitcnt lgkmcnt(10)                                      // 000000006C70: BF8CCA7F
	v_mfma_f32_16x16x32_fp8_fp8 v[100:103], a[92:93], v[8:9], v[100:103]// 000000006C74: D3F30064 0D92115C
	v_mfma_f32_16x16x32_fp8_fp8 v[104:107], a[108:109], v[8:9], v[104:107]// 000000006C7C: D3F30068 0DA2116C
	v_mfma_f32_16x16x32_fp8_fp8 v[100:103], a[94:95], v[10:11], v[100:103]// 000000006C84: D3F30064 0D92155E
	buffer_load_dwordx4 a[124:127], v232, s[16:19], 0 offen    // 000000006C8C: E05C1000 80847CE8
	v_mfma_f32_16x16x32_fp8_fp8 v[104:107], a[110:111], v[10:11], v[104:107]// 000000006C94: D3F30068 0DA2156E
	s_waitcnt lgkmcnt(9)                                       // 000000006C9C: BF8CC97F
	v_mfma_f32_16x16x32_fp8_fp8 v[100:103], a[96:97], v[12:13], v[100:103]// 000000006CA0: D3F30064 0D921960
	v_mfma_f32_16x16x32_fp8_fp8 v[104:107], a[112:113], v[12:13], v[104:107]// 000000006CA8: D3F30068 0DA21970
	v_mfma_f32_16x16x32_fp8_fp8 v[100:103], a[98:99], v[14:15], v[100:103]// 000000006CB0: D3F30064 0D921D62
	buffer_load_dwordx4 a[128:131], v233, s[16:19], 0 offen    // 000000006CB8: E05C1000 808480E9
	v_mfma_f32_16x16x32_fp8_fp8 v[104:107], a[114:115], v[14:15], v[104:107]// 000000006CC0: D3F30068 0DA21D72
	s_waitcnt lgkmcnt(8)                                       // 000000006CC8: BF8CC87F
	v_mfma_f32_16x16x32_fp8_fp8 v[100:103], a[100:101], v[16:17], v[100:103]// 000000006CCC: D3F30064 0D922164
	v_mfma_f32_16x16x32_fp8_fp8 v[104:107], a[116:117], v[16:17], v[104:107]// 000000006CD4: D3F30068 0DA22174
	v_mfma_f32_16x16x32_fp8_fp8 v[100:103], a[102:103], v[18:19], v[100:103]// 000000006CDC: D3F30064 0D922566
	buffer_load_dwordx4 a[132:135], v234, s[16:19], 0 offen    // 000000006CE4: E05C1000 808484EA
	v_mfma_f32_16x16x32_fp8_fp8 v[104:107], a[118:119], v[18:19], v[104:107]// 000000006CEC: D3F30068 0DA22576
	s_waitcnt lgkmcnt(7)                                       // 000000006CF4: BF8CC77F
	v_mfma_f32_16x16x32_fp8_fp8 v[108:111], a[88:89], v[20:21], 0// 000000006CF8: D3F3006C 0A022958
	v_mfma_f32_16x16x32_fp8_fp8 v[112:115], a[104:105], v[20:21], 0// 000000006D00: D3F30070 0A022968
	v_mfma_f32_16x16x32_fp8_fp8 v[108:111], a[90:91], v[22:23], v[108:111]// 000000006D08: D3F3006C 0DB22D5A
	buffer_load_dwordx4 a[136:139], v231, s[16:19], 0 offen offset:1024// 000000006D10: E05C1400 808488E7
	v_mfma_f32_16x16x32_fp8_fp8 v[112:115], a[106:107], v[22:23], v[112:115]// 000000006D18: D3F30070 0DC22D6A
	s_waitcnt lgkmcnt(6)                                       // 000000006D20: BF8CC67F
	v_mfma_f32_16x16x32_fp8_fp8 v[108:111], a[92:93], v[24:25], v[108:111]// 000000006D24: D3F3006C 0DB2315C
	v_mfma_f32_16x16x32_fp8_fp8 v[112:115], a[108:109], v[24:25], v[112:115]// 000000006D2C: D3F30070 0DC2316C
	v_mfma_f32_16x16x32_fp8_fp8 v[108:111], a[94:95], v[26:27], v[108:111]// 000000006D34: D3F3006C 0DB2355E
	buffer_load_dwordx4 a[140:143], v232, s[16:19], 0 offen offset:1024// 000000006D3C: E05C1400 80848CE8
	v_mfma_f32_16x16x32_fp8_fp8 v[112:115], a[110:111], v[26:27], v[112:115]// 000000006D44: D3F30070 0DC2356E
	s_waitcnt lgkmcnt(5)                                       // 000000006D4C: BF8CC57F
	v_mfma_f32_16x16x32_fp8_fp8 v[108:111], a[96:97], v[28:29], v[108:111]// 000000006D50: D3F3006C 0DB23960
	v_mfma_f32_16x16x32_fp8_fp8 v[112:115], a[112:113], v[28:29], v[112:115]// 000000006D58: D3F30070 0DC23970
	v_mfma_f32_16x16x32_fp8_fp8 v[108:111], a[98:99], v[30:31], v[108:111]// 000000006D60: D3F3006C 0DB23D62
	buffer_load_dwordx4 a[144:147], v233, s[16:19], 0 offen offset:1024// 000000006D68: E05C1400 808490E9
	v_mfma_f32_16x16x32_fp8_fp8 v[112:115], a[114:115], v[30:31], v[112:115]// 000000006D70: D3F30070 0DC23D72
	s_waitcnt lgkmcnt(4)                                       // 000000006D78: BF8CC47F
	v_mfma_f32_16x16x32_fp8_fp8 v[108:111], a[100:101], v[32:33], v[108:111]// 000000006D7C: D3F3006C 0DB24164
	v_mfma_f32_16x16x32_fp8_fp8 v[112:115], a[116:117], v[32:33], v[112:115]// 000000006D84: D3F30070 0DC24174
	v_mfma_f32_16x16x32_fp8_fp8 v[108:111], a[102:103], v[34:35], v[108:111]// 000000006D8C: D3F3006C 0DB24566
	buffer_load_dwordx4 a[148:151], v234, s[16:19], 0 offen offset:1024// 000000006D94: E05C1400 808494EA
	v_mfma_f32_16x16x32_fp8_fp8 v[112:115], a[118:119], v[34:35], v[112:115]// 000000006D9C: D3F30070 0DC24576
	s_waitcnt lgkmcnt(3)                                       // 000000006DA4: BF8CC37F
	v_mfma_f32_16x16x32_fp8_fp8 v[116:119], a[88:89], v[36:37], 0// 000000006DA8: D3F30074 0A024958
	v_mfma_f32_16x16x32_fp8_fp8 v[120:123], a[104:105], v[36:37], 0// 000000006DB0: D3F30078 0A024968
	v_mfma_f32_16x16x32_fp8_fp8 v[116:119], a[90:91], v[38:39], v[116:119]// 000000006DB8: D3F30074 0DD24D5A
	v_mfma_f32_16x16x32_fp8_fp8 v[120:123], a[106:107], v[38:39], v[120:123]// 000000006DC0: D3F30078 0DE24D6A
	s_waitcnt lgkmcnt(2)                                       // 000000006DC8: BF8CC27F
	v_mfma_f32_16x16x32_fp8_fp8 v[116:119], a[92:93], v[40:41], v[116:119]// 000000006DCC: D3F30074 0DD2515C
	v_mfma_f32_16x16x32_fp8_fp8 v[120:123], a[108:109], v[40:41], v[120:123]// 000000006DD4: D3F30078 0DE2516C
	v_mfma_f32_16x16x32_fp8_fp8 v[116:119], a[94:95], v[42:43], v[116:119]// 000000006DDC: D3F30074 0DD2555E
	v_mfma_f32_16x16x32_fp8_fp8 v[120:123], a[110:111], v[42:43], v[120:123]// 000000006DE4: D3F30078 0DE2556E
	s_waitcnt lgkmcnt(1)                                       // 000000006DEC: BF8CC17F
	v_mfma_f32_16x16x32_fp8_fp8 v[116:119], a[96:97], v[44:45], v[116:119]// 000000006DF0: D3F30074 0DD25960
	v_mfma_f32_16x16x32_fp8_fp8 v[120:123], a[112:113], v[44:45], v[120:123]// 000000006DF8: D3F30078 0DE25970
	v_mfma_f32_16x16x32_fp8_fp8 v[116:119], a[98:99], v[46:47], v[116:119]// 000000006E00: D3F30074 0DD25D62
	v_mfma_f32_16x16x32_fp8_fp8 v[120:123], a[114:115], v[46:47], v[120:123]// 000000006E08: D3F30078 0DE25D72
	s_waitcnt lgkmcnt(0)                                       // 000000006E10: BF8CC07F
	v_mfma_f32_16x16x32_fp8_fp8 v[116:119], a[100:101], v[48:49], v[116:119]// 000000006E14: D3F30074 0DD26164
	v_mfma_f32_16x16x32_fp8_fp8 v[120:123], a[116:117], v[48:49], v[120:123]// 000000006E1C: D3F30078 0DE26174
	v_mfma_f32_16x16x32_fp8_fp8 v[116:119], a[102:103], v[50:51], v[116:119]// 000000006E24: D3F30074 0DD26566
	v_mfma_f32_16x16x32_fp8_fp8 v[120:123], a[118:119], v[50:51], v[120:123]// 000000006E2C: D3F30078 0DE26576
	s_addk_i32 s64, 0x100                                      // 000000006E34: B7400100
	s_cmp_lt_i32 s64, s63                                      // 000000006E38: BF043F40
	s_cbranch_scc0 label_3EC3                                  // 000000006E3C: BF842D33
	s_waitcnt vmcnt(10)                                        // 000000006E40: BF8C0F7A
	v_mfma_f32_16x16x32_fp8_fp8 v[4:7], a[56:57], a[0:1], 0    // 000000006E44: D3F30004 1A020138
	s_add_u32 s12, s86, s69                                    // 000000006E4C: 800C4556
	s_addc_u32 s13, s87, 0                                     // 000000006E50: 820D8057
	v_mfma_f32_16x16x32_fp8_fp8 v[4:7], a[58:59], a[2:3], v[4:7]// 000000006E54: D3F30004 1C12053A
	s_add_u32 s16, s88, s70                                    // 000000006E5C: 80104658
	s_addc_u32 s17, s89, 0                                     // 000000006E60: 82118059
	v_mfma_f32_16x16x32_fp8_fp8 v[4:7], a[60:61], a[4:5], v[4:7]// 000000006E64: D3F30004 1C12093C
	buffer_load_dwordx4 a[24:27], v229, s[12:15], 0 offen      // 000000006E6C: E05C1000 808318E5
	v_mfma_f32_16x16x32_fp8_fp8 v[4:7], a[62:63], a[6:7], v[4:7]// 000000006E74: D3F30004 1C120D3E
	s_add_u32 s20, s90, s71                                    // 000000006E7C: 8014475A
	s_addc_u32 s21, s91, 0                                     // 000000006E80: 8215805B
	v_mfma_f32_16x16x32_fp8_fp8 v[8:11], a[64:65], a[0:1], 0   // 000000006E84: D3F30008 1A020140
	s_add_u32 s24, s92, s71                                    // 000000006E8C: 8018475C
	s_addc_u32 s25, s93, 0                                     // 000000006E90: 8219805D
	v_mfma_f32_16x16x32_fp8_fp8 v[8:11], a[66:67], a[2:3], v[8:11]// 000000006E94: D3F30008 1C220542
	s_add_u32 s69, s69, 0x1000                                 // 000000006E9C: 8045FF45 00001000
	s_add_u32 s70, s70, 0x8000                                 // 000000006EA4: 8046FF46 00008000
	v_mfma_f32_16x16x32_fp8_fp8 v[8:11], a[68:69], a[4:5], v[8:11]// 000000006EAC: D3F30008 1C220944
	buffer_load_dwordx4 a[28:31], v230, s[12:15], 0 offen      // 000000006EB4: E05C1000 80831CE6
	v_mfma_f32_16x16x32_fp8_fp8 v[8:11], a[70:71], a[6:7], v[8:11]// 000000006EBC: D3F30008 1C220D46
	s_add_u32 s71, s71, 0x400                                  // 000000006EC4: 8047FF47 00000400
	v_mfma_f32_16x16x32_fp8_fp8 v[12:15], a[72:73], a[0:1], 0  // 000000006ECC: D3F3000C 1A020148
	v_mfma_f32_16x16x32_fp8_fp8 v[12:15], a[74:75], a[2:3], v[12:15]// 000000006ED4: D3F3000C 1C32054A
	v_mfma_f32_16x16x32_fp8_fp8 v[12:15], a[76:77], a[4:5], v[12:15]// 000000006EDC: D3F3000C 1C32094C
	buffer_load_dwordx4 a[32:35], v229, s[12:15], 0 offen offset:1024// 000000006EE4: E05C1400 808320E5
	v_mfma_f32_16x16x32_fp8_fp8 v[12:15], a[78:79], a[6:7], v[12:15]// 000000006EEC: D3F3000C 1C320D4E
	v_mfma_f32_16x16x32_fp8_fp8 v[16:19], a[80:81], a[0:1], 0  // 000000006EF4: D3F30010 1A020150
	v_mfma_f32_16x16x32_fp8_fp8 v[16:19], a[82:83], a[2:3], v[16:19]// 000000006EFC: D3F30010 1C420552
	v_mfma_f32_16x16x32_fp8_fp8 v[16:19], a[84:85], a[4:5], v[16:19]// 000000006F04: D3F30010 1C420954
	buffer_load_dwordx4 a[36:39], v230, s[12:15], 0 offen offset:1024// 000000006F0C: E05C1400 808324E6
	v_mfma_f32_16x16x32_fp8_fp8 v[16:19], a[86:87], a[6:7], v[16:19]// 000000006F14: D3F30010 1C420D56
	v_mfma_f32_16x16x32_fp8_fp8 v[20:23], a[56:57], a[8:9], 0  // 000000006F1C: D3F30014 1A021138
	v_mfma_f32_16x16x32_fp8_fp8 v[20:23], a[58:59], a[10:11], v[20:23]// 000000006F24: D3F30014 1C52153A
	v_mfma_f32_16x16x32_fp8_fp8 v[20:23], a[60:61], a[12:13], v[20:23]// 000000006F2C: D3F30014 1C52193C
	buffer_load_dwordx4 a[40:43], v229, s[12:15], 0 offen offset:2048// 000000006F34: E05C1800 808328E5
	v_mfma_f32_16x16x32_fp8_fp8 v[20:23], a[62:63], a[14:15], v[20:23]// 000000006F3C: D3F30014 1C521D3E
	v_mfma_f32_16x16x32_fp8_fp8 v[24:27], a[64:65], a[8:9], 0  // 000000006F44: D3F30018 1A021140
	v_mfma_f32_16x16x32_fp8_fp8 v[24:27], a[66:67], a[10:11], v[24:27]// 000000006F4C: D3F30018 1C621542
	v_mfma_f32_16x16x32_fp8_fp8 v[24:27], a[68:69], a[12:13], v[24:27]// 000000006F54: D3F30018 1C621944
	buffer_load_dwordx4 a[44:47], v230, s[12:15], 0 offen offset:2048// 000000006F5C: E05C1800 80832CE6
	v_mfma_f32_16x16x32_fp8_fp8 v[24:27], a[70:71], a[14:15], v[24:27]// 000000006F64: D3F30018 1C621D46
	v_mfma_f32_16x16x32_fp8_fp8 v[28:31], a[72:73], a[8:9], 0  // 000000006F6C: D3F3001C 1A021148
	v_mfma_f32_16x16x32_fp8_fp8 v[28:31], a[74:75], a[10:11], v[28:31]// 000000006F74: D3F3001C 1C72154A
	v_mfma_f32_16x16x32_fp8_fp8 v[28:31], a[76:77], a[12:13], v[28:31]// 000000006F7C: D3F3001C 1C72194C
	buffer_load_dwordx4 a[48:51], v229, s[12:15], 0 offen offset:3072// 000000006F84: E05C1C00 808330E5
	v_mfma_f32_16x16x32_fp8_fp8 v[28:31], a[78:79], a[14:15], v[28:31]// 000000006F8C: D3F3001C 1C721D4E
	v_mfma_f32_16x16x32_fp8_fp8 v[32:35], a[80:81], a[8:9], 0  // 000000006F94: D3F30020 1A021150
	v_mfma_f32_16x16x32_fp8_fp8 v[32:35], a[82:83], a[10:11], v[32:35]// 000000006F9C: D3F30020 1C821552
	v_mfma_f32_16x16x32_fp8_fp8 v[32:35], a[84:85], a[12:13], v[32:35]// 000000006FA4: D3F30020 1C821954
	buffer_load_dwordx4 a[52:55], v230, s[12:15], 0 offen offset:3072// 000000006FAC: E05C1C00 808334E6
	v_mfma_f32_16x16x32_fp8_fp8 v[32:35], a[86:87], a[14:15], v[32:35]// 000000006FB4: D3F30020 1C821D56
	v_mfma_f32_16x16x32_fp8_fp8 v[36:39], a[56:57], a[16:17], 0// 000000006FBC: D3F30024 1A022138
	v_mfma_f32_16x16x32_fp8_fp8 v[36:39], a[58:59], a[18:19], v[36:39]// 000000006FC4: D3F30024 1C92253A
	v_mfma_f32_16x16x32_fp8_fp8 v[36:39], a[60:61], a[20:21], v[36:39]// 000000006FCC: D3F30024 1C92293C
	v_mfma_f32_16x16x32_fp8_fp8 v[36:39], a[62:63], a[22:23], v[36:39]// 000000006FD4: D3F30024 1C922D3E
	v_mfma_f32_16x16x32_fp8_fp8 v[40:43], a[64:65], a[16:17], 0// 000000006FDC: D3F30028 1A022140
	v_mfma_f32_16x16x32_fp8_fp8 v[40:43], a[66:67], a[18:19], v[40:43]// 000000006FE4: D3F30028 1CA22542
	v_mfma_f32_16x16x32_fp8_fp8 v[40:43], a[68:69], a[20:21], v[40:43]// 000000006FEC: D3F30028 1CA22944
	v_mfma_f32_16x16x32_fp8_fp8 v[40:43], a[70:71], a[22:23], v[40:43]// 000000006FF4: D3F30028 1CA22D46
	v_mfma_f32_16x16x32_fp8_fp8 v[44:47], a[72:73], a[16:17], 0// 000000006FFC: D3F3002C 1A022148
	v_mfma_f32_16x16x32_fp8_fp8 v[44:47], a[74:75], a[18:19], v[44:47]// 000000007004: D3F3002C 1CB2254A
	v_mfma_f32_16x16x32_fp8_fp8 v[44:47], a[76:77], a[20:21], v[44:47]// 00000000700C: D3F3002C 1CB2294C
	v_mfma_f32_16x16x32_fp8_fp8 v[44:47], a[78:79], a[22:23], v[44:47]// 000000007014: D3F3002C 1CB22D4E
	v_mfma_f32_16x16x32_fp8_fp8 v[48:51], a[80:81], a[16:17], 0// 00000000701C: D3F30030 1A022150
	v_mfma_f32_16x16x32_fp8_fp8 v[48:51], a[82:83], a[18:19], v[48:51]// 000000007024: D3F30030 1CC22552
	v_mfma_f32_16x16x32_fp8_fp8 v[48:51], a[84:85], a[20:21], v[48:51]// 00000000702C: D3F30030 1CC22954
	v_mfma_f32_16x16x32_fp8_fp8 v[48:51], a[86:87], a[22:23], v[48:51]// 000000007034: D3F30030 1CC22D56
	s_waitcnt vmcnt(16)                                        // 00000000703C: BF8C4F70
	v_pk_mul_f32 v[4:5], v[148:149], v[4:5]                    // 000000007040: D3B14004 18020994
	v_pk_mul_f32 v[6:7], v[148:149], v[6:7]                    // 000000007048: D3B14006 18020D94
	v_mul_f32_dpp v4, v155, v4 row_newbcast:0 row_mask:0xf bank_mask:0xf// 000000007050: 0A0808FA FF01509B
	v_mul_f32_dpp v5, v155, v5 row_newbcast:1 row_mask:0xf bank_mask:0xf// 000000007058: 0A0A0AFA FF01519B
	v_mul_f32_dpp v6, v155, v6 row_newbcast:2 row_mask:0xf bank_mask:0xf// 000000007060: 0A0C0CFA FF01529B
	v_mul_f32_dpp v7, v155, v7 row_newbcast:3 row_mask:0xf bank_mask:0xf// 000000007068: 0A0E0EFA FF01539B
	v_pk_mul_f32 v[8:9], v[148:149], v[8:9]                    // 000000007070: D3B14008 18021194
	v_pk_mul_f32 v[10:11], v[148:149], v[10:11]                // 000000007078: D3B1400A 18021594
	v_mul_f32_dpp v8, v155, v8 row_newbcast:4 row_mask:0xf bank_mask:0xf// 000000007080: 0A1010FA FF01549B
	v_mul_f32_dpp v9, v155, v9 row_newbcast:5 row_mask:0xf bank_mask:0xf// 000000007088: 0A1212FA FF01559B
	v_mul_f32_dpp v10, v155, v10 row_newbcast:6 row_mask:0xf bank_mask:0xf// 000000007090: 0A1414FA FF01569B
	v_mul_f32_dpp v11, v155, v11 row_newbcast:7 row_mask:0xf bank_mask:0xf// 000000007098: 0A1616FA FF01579B
	v_pk_mul_f32 v[12:13], v[148:149], v[12:13]                // 0000000070A0: D3B1400C 18021994
	v_pk_mul_f32 v[14:15], v[148:149], v[14:15]                // 0000000070A8: D3B1400E 18021D94
	v_mul_f32_dpp v12, v155, v12 row_newbcast:8 row_mask:0xf bank_mask:0xf// 0000000070B0: 0A1818FA FF01589B
	v_mul_f32_dpp v13, v155, v13 row_newbcast:9 row_mask:0xf bank_mask:0xf// 0000000070B8: 0A1A1AFA FF01599B
	v_mul_f32_dpp v14, v155, v14 row_newbcast:10 row_mask:0xf bank_mask:0xf// 0000000070C0: 0A1C1CFA FF015A9B
	v_mul_f32_dpp v15, v155, v15 row_newbcast:11 row_mask:0xf bank_mask:0xf// 0000000070C8: 0A1E1EFA FF015B9B
	v_pk_mul_f32 v[16:17], v[148:149], v[16:17]                // 0000000070D0: D3B14010 18022194
	v_pk_mul_f32 v[18:19], v[148:149], v[18:19]                // 0000000070D8: D3B14012 18022594
	v_mul_f32_dpp v16, v155, v16 row_newbcast:12 row_mask:0xf bank_mask:0xf// 0000000070E0: 0A2020FA FF015C9B
	v_mul_f32_dpp v17, v155, v17 row_newbcast:13 row_mask:0xf bank_mask:0xf// 0000000070E8: 0A2222FA FF015D9B
	v_mul_f32_dpp v18, v155, v18 row_newbcast:14 row_mask:0xf bank_mask:0xf// 0000000070F0: 0A2424FA FF015E9B
	v_mul_f32_dpp v19, v155, v19 row_newbcast:15 row_mask:0xf bank_mask:0xf// 0000000070F8: 0A2626FA FF015F9B
	v_pk_mul_f32 v[20:21], v[150:151], v[20:21]                // 000000007100: D3B14014 18022996
	v_pk_mul_f32 v[22:23], v[150:151], v[22:23]                // 000000007108: D3B14016 18022D96
	v_mul_f32_dpp v20, v155, v20 row_newbcast:0 row_mask:0xf bank_mask:0xf// 000000007110: 0A2828FA FF01509B
	v_mul_f32_dpp v21, v155, v21 row_newbcast:1 row_mask:0xf bank_mask:0xf// 000000007118: 0A2A2AFA FF01519B
	v_mul_f32_dpp v22, v155, v22 row_newbcast:2 row_mask:0xf bank_mask:0xf// 000000007120: 0A2C2CFA FF01529B
	v_mul_f32_dpp v23, v155, v23 row_newbcast:3 row_mask:0xf bank_mask:0xf// 000000007128: 0A2E2EFA FF01539B
	v_pk_mul_f32 v[24:25], v[150:151], v[24:25]                // 000000007130: D3B14018 18023196
	v_pk_mul_f32 v[26:27], v[150:151], v[26:27]                // 000000007138: D3B1401A 18023596
	v_mul_f32_dpp v24, v155, v24 row_newbcast:4 row_mask:0xf bank_mask:0xf// 000000007140: 0A3030FA FF01549B
	v_mul_f32_dpp v25, v155, v25 row_newbcast:5 row_mask:0xf bank_mask:0xf// 000000007148: 0A3232FA FF01559B
	v_mul_f32_dpp v26, v155, v26 row_newbcast:6 row_mask:0xf bank_mask:0xf// 000000007150: 0A3434FA FF01569B
	v_mul_f32_dpp v27, v155, v27 row_newbcast:7 row_mask:0xf bank_mask:0xf// 000000007158: 0A3636FA FF01579B
	v_pk_mul_f32 v[28:29], v[150:151], v[28:29]                // 000000007160: D3B1401C 18023996
	v_pk_mul_f32 v[30:31], v[150:151], v[30:31]                // 000000007168: D3B1401E 18023D96
	v_mul_f32_dpp v28, v155, v28 row_newbcast:8 row_mask:0xf bank_mask:0xf// 000000007170: 0A3838FA FF01589B
	v_mul_f32_dpp v29, v155, v29 row_newbcast:9 row_mask:0xf bank_mask:0xf// 000000007178: 0A3A3AFA FF01599B
	v_mul_f32_dpp v30, v155, v30 row_newbcast:10 row_mask:0xf bank_mask:0xf// 000000007180: 0A3C3CFA FF015A9B
	v_mul_f32_dpp v31, v155, v31 row_newbcast:11 row_mask:0xf bank_mask:0xf// 000000007188: 0A3E3EFA FF015B9B
	v_pk_mul_f32 v[32:33], v[150:151], v[32:33]                // 000000007190: D3B14020 18024196
	v_pk_mul_f32 v[34:35], v[150:151], v[34:35]                // 000000007198: D3B14022 18024596
	v_mul_f32_dpp v32, v155, v32 row_newbcast:12 row_mask:0xf bank_mask:0xf// 0000000071A0: 0A4040FA FF015C9B
	v_mul_f32_dpp v33, v155, v33 row_newbcast:13 row_mask:0xf bank_mask:0xf// 0000000071A8: 0A4242FA FF015D9B
	v_mul_f32_dpp v34, v155, v34 row_newbcast:14 row_mask:0xf bank_mask:0xf// 0000000071B0: 0A4444FA FF015E9B
	v_mul_f32_dpp v35, v155, v35 row_newbcast:15 row_mask:0xf bank_mask:0xf// 0000000071B8: 0A4646FA FF015F9B
	v_pk_mul_f32 v[36:37], v[152:153], v[36:37]                // 0000000071C0: D3B14024 18024998
	v_pk_mul_f32 v[38:39], v[152:153], v[38:39]                // 0000000071C8: D3B14026 18024D98
	v_mul_f32_dpp v36, v155, v36 row_newbcast:0 row_mask:0xf bank_mask:0xf// 0000000071D0: 0A4848FA FF01509B
	v_mul_f32_dpp v37, v155, v37 row_newbcast:1 row_mask:0xf bank_mask:0xf// 0000000071D8: 0A4A4AFA FF01519B
	v_mul_f32_dpp v38, v155, v38 row_newbcast:2 row_mask:0xf bank_mask:0xf// 0000000071E0: 0A4C4CFA FF01529B
	v_mul_f32_dpp v39, v155, v39 row_newbcast:3 row_mask:0xf bank_mask:0xf// 0000000071E8: 0A4E4EFA FF01539B
	v_pk_mul_f32 v[40:41], v[152:153], v[40:41]                // 0000000071F0: D3B14028 18025198
	v_pk_mul_f32 v[42:43], v[152:153], v[42:43]                // 0000000071F8: D3B1402A 18025598
	v_mul_f32_dpp v40, v155, v40 row_newbcast:4 row_mask:0xf bank_mask:0xf// 000000007200: 0A5050FA FF01549B
	v_mul_f32_dpp v41, v155, v41 row_newbcast:5 row_mask:0xf bank_mask:0xf// 000000007208: 0A5252FA FF01559B
	v_mul_f32_dpp v42, v155, v42 row_newbcast:6 row_mask:0xf bank_mask:0xf// 000000007210: 0A5454FA FF01569B
	v_mul_f32_dpp v43, v155, v43 row_newbcast:7 row_mask:0xf bank_mask:0xf// 000000007218: 0A5656FA FF01579B
	v_pk_mul_f32 v[44:45], v[152:153], v[44:45]                // 000000007220: D3B1402C 18025998
	v_pk_mul_f32 v[46:47], v[152:153], v[46:47]                // 000000007228: D3B1402E 18025D98
	v_mul_f32_dpp v44, v155, v44 row_newbcast:8 row_mask:0xf bank_mask:0xf// 000000007230: 0A5858FA FF01589B
	v_mul_f32_dpp v45, v155, v45 row_newbcast:9 row_mask:0xf bank_mask:0xf// 000000007238: 0A5A5AFA FF01599B
	v_mul_f32_dpp v46, v155, v46 row_newbcast:10 row_mask:0xf bank_mask:0xf// 000000007240: 0A5C5CFA FF015A9B
	v_mul_f32_dpp v47, v155, v47 row_newbcast:11 row_mask:0xf bank_mask:0xf// 000000007248: 0A5E5EFA FF015B9B
	v_pk_mul_f32 v[48:49], v[152:153], v[48:49]                // 000000007250: D3B14030 18026198
	v_pk_mul_f32 v[50:51], v[152:153], v[50:51]                // 000000007258: D3B14032 18026598
	v_mul_f32_dpp v48, v155, v48 row_newbcast:12 row_mask:0xf bank_mask:0xf// 000000007260: 0A6060FA FF015C9B
	v_mul_f32_dpp v49, v155, v49 row_newbcast:13 row_mask:0xf bank_mask:0xf// 000000007268: 0A6262FA FF015D9B
	v_mul_f32_dpp v50, v155, v50 row_newbcast:14 row_mask:0xf bank_mask:0xf// 000000007270: 0A6464FA FF015E9B
	v_mul_f32_dpp v51, v155, v51 row_newbcast:15 row_mask:0xf bank_mask:0xf// 000000007278: 0A6666FA FF015F9B
	v_mov_b32_e32 v182, v4                                     // 000000007280: 7F6C0304
	v_max3_f32 v182, v4, v5, v182                              // 000000007284: D1D300B6 06DA0B04
	v_max3_f32 v182, v6, v7, v182                              // 00000000728C: D1D300B6 06DA0F06
	v_max3_f32 v182, v8, v9, v182                              // 000000007294: D1D300B6 06DA1308
	v_max3_f32 v182, v10, v11, v182                            // 00000000729C: D1D300B6 06DA170A
	v_max3_f32 v182, v12, v13, v182                            // 0000000072A4: D1D300B6 06DA1B0C
	v_max3_f32 v182, v14, v15, v182                            // 0000000072AC: D1D300B6 06DA1F0E
	v_max3_f32 v182, v16, v17, v182                            // 0000000072B4: D1D300B6 06DA2310
	v_max3_f32 v182, v18, v19, v182                            // 0000000072BC: D1D300B6 06DA2712
	v_mov_b32_e32 v183, v20                                    // 0000000072C4: 7F6E0314
	v_max3_f32 v183, v20, v21, v183                            // 0000000072C8: D1D300B7 06DE2B14
	v_max3_f32 v183, v22, v23, v183                            // 0000000072D0: D1D300B7 06DE2F16
	v_max3_f32 v183, v24, v25, v183                            // 0000000072D8: D1D300B7 06DE3318
	v_max3_f32 v183, v26, v27, v183                            // 0000000072E0: D1D300B7 06DE371A
	v_max3_f32 v183, v28, v29, v183                            // 0000000072E8: D1D300B7 06DE3B1C
	v_max3_f32 v183, v30, v31, v183                            // 0000000072F0: D1D300B7 06DE3F1E
	v_max3_f32 v183, v32, v33, v183                            // 0000000072F8: D1D300B7 06DE4320
	v_max3_f32 v183, v34, v35, v183                            // 000000007300: D1D300B7 06DE4722
	v_mov_b32_e32 v184, v36                                    // 000000007308: 7F700324
	v_max3_f32 v184, v36, v37, v184                            // 00000000730C: D1D300B8 06E24B24
	v_max3_f32 v184, v38, v39, v184                            // 000000007314: D1D300B8 06E24F26
	v_max3_f32 v184, v40, v41, v184                            // 00000000731C: D1D300B8 06E25328
	v_max3_f32 v184, v42, v43, v184                            // 000000007324: D1D300B8 06E2572A
	v_max3_f32 v184, v44, v45, v184                            // 00000000732C: D1D300B8 06E25B2C
	v_max3_f32 v184, v46, v47, v184                            // 000000007334: D1D300B8 06E25F2E
	v_max3_f32 v184, v48, v49, v184                            // 00000000733C: D1D300B8 06E26330
	v_max3_f32 v184, v50, v51, v184                            // 000000007344: D1D300B8 06E26732
	ds_bpermute_b32 v188, v208, v182                           // 00000000734C: D87E0000 BC00B6D0
	ds_bpermute_b32 v189, v209, v182                           // 000000007354: D87E0000 BD00B6D1
	ds_bpermute_b32 v190, v210, v182                           // 00000000735C: D87E0000 BE00B6D2
	ds_bpermute_b32 v191, v208, v183                           // 000000007364: D87E0000 BF00B7D0
	ds_bpermute_b32 v192, v209, v183                           // 00000000736C: D87E0000 C000B7D1
	ds_bpermute_b32 v193, v210, v183                           // 000000007374: D87E0000 C100B7D2
	ds_bpermute_b32 v194, v208, v184                           // 00000000737C: D87E0000 C200B8D0
	ds_bpermute_b32 v195, v209, v184                           // 000000007384: D87E0000 C300B8D1
	ds_bpermute_b32 v196, v210, v184                           // 00000000738C: D87E0000 C400B8D2
	v_pk_mul_f32 v[124:125], v[170:171], v[124:125]            // 000000007394: D3B1407C 1802F9AA
	v_pk_mul_f32 v[126:127], v[170:171], v[126:127]            // 00000000739C: D3B1407E 1802FDAA
	v_pk_mul_f32 v[128:129], v[170:171], v[128:129]            // 0000000073A4: D3B14080 180301AA
	v_pk_mul_f32 v[130:131], v[170:171], v[130:131]            // 0000000073AC: D3B14082 180305AA
	v_pk_mul_f32 v[132:133], v[172:173], v[132:133]            // 0000000073B4: D3B14084 180309AC
	v_pk_mul_f32 v[134:135], v[172:173], v[134:135]            // 0000000073BC: D3B14086 18030DAC
	v_pk_mul_f32 v[136:137], v[172:173], v[136:137]            // 0000000073C4: D3B14088 180311AC
	v_pk_mul_f32 v[138:139], v[172:173], v[138:139]            // 0000000073CC: D3B1408A 180315AC
	v_pk_mul_f32 v[140:141], v[174:175], v[140:141]            // 0000000073D4: D3B1408C 180319AE
	v_pk_mul_f32 v[142:143], v[174:175], v[142:143]            // 0000000073DC: D3B1408E 18031DAE
	v_pk_mul_f32 v[144:145], v[174:175], v[144:145]            // 0000000073E4: D3B14090 180321AE
	v_pk_mul_f32 v[146:147], v[174:175], v[146:147]            // 0000000073EC: D3B14092 180325AE
	s_waitcnt lgkmcnt(6)                                       // 0000000073F4: BF8CC67F
	v_max3_f32 v182, v188, v189, v182                          // 0000000073F8: D1D300B6 06DB7BBC
	v_max_f32_e32 v182, v190, v182                             // 000000007400: 176D6DBE
	s_waitcnt lgkmcnt(3)                                       // 000000007404: BF8CC37F
	v_max3_f32 v183, v191, v192, v183                          // 000000007408: D1D300B7 06DF81BF
	v_max_f32_e32 v183, v193, v183                             // 000000007410: 176F6FC1
	s_waitcnt lgkmcnt(0)                                       // 000000007414: BF8CC07F
	v_max3_f32 v184, v194, v195, v184                          // 000000007418: D1D300B8 06E387C2
	v_max_f32_e32 v184, v196, v184                             // 000000007420: 177171C4
	ds_write_b128 v249, v[182:185]                             // 000000007424: D9BE0000 0000B6F9
	s_waitcnt lgkmcnt(0)                                       // 00000000742C: BF8CC07F
	s_barrier                                                  // 000000007430: BF8A0000
	ds_read_b128 v[188:191], v250                              // 000000007434: D9FE0000 BC0000FA
	ds_read_b128 v[192:195], v250 offset:256                   // 00000000743C: D9FE0100 C00000FA
	ds_read_b128 v[196:199], v250 offset:512                   // 000000007444: D9FE0200 C40000FA
	ds_read_b128 v[200:203], v250 offset:768                   // 00000000744C: D9FE0300 C80000FA
	v_pk_mul_f32 v[100:101], v[158:159], v[100:101]            // 000000007454: D3B14064 1802C99E
	v_pk_mul_f32 v[102:103], v[158:159], v[102:103]            // 00000000745C: D3B14066 1802CD9E
	v_pk_mul_f32 v[104:105], v[158:159], v[104:105]            // 000000007464: D3B14068 1802D19E
	v_pk_mul_f32 v[106:107], v[158:159], v[106:107]            // 00000000746C: D3B1406A 1802D59E
	v_pk_mul_f32 v[108:109], v[160:161], v[108:109]            // 000000007474: D3B1406C 1802D9A0
	v_pk_mul_f32 v[110:111], v[160:161], v[110:111]            // 00000000747C: D3B1406E 1802DDA0
	v_pk_mul_f32 v[112:113], v[160:161], v[112:113]            // 000000007484: D3B14070 1802E1A0
	v_pk_mul_f32 v[114:115], v[160:161], v[114:115]            // 00000000748C: D3B14072 1802E5A0
	v_pk_mul_f32 v[116:117], v[162:163], v[116:117]            // 000000007494: D3B14074 1802E9A2
	v_pk_mul_f32 v[118:119], v[162:163], v[118:119]            // 00000000749C: D3B14076 1802EDA2
	v_pk_mul_f32 v[120:121], v[162:163], v[120:121]            // 0000000074A4: D3B14078 1802F1A2
	v_pk_mul_f32 v[122:123], v[162:163], v[122:123]            // 0000000074AC: D3B1407A 1802F5A2
	s_waitcnt lgkmcnt(0)                                       // 0000000074B4: BF8CC07F
	v_max3_f32 v182, v188, v192, v182                          // 0000000074B8: D1D300B6 06DB81BC
	v_max3_f32 v183, v189, v193, v183                          // 0000000074C0: D1D300B7 06DF83BD
	v_max3_f32 v184, v190, v194, v184                          // 0000000074C8: D1D300B8 06E385BE
	v_max3_f32 v182, v196, v200, v182                          // 0000000074D0: D1D300B6 06DB91C4
	v_max3_f32 v183, v197, v201, v183                          // 0000000074D8: D1D300B7 06DF93C5
	v_max3_f32 v184, v198, v202, v184                          // 0000000074E0: D1D300B8 06E395C6
	v_max_f32_e32 v167, v182, v164                             // 0000000074E8: 174F49B6
	v_mul_f32_e64 v204, -s46, v167                             // 0000000074EC: D10500CC 20034E2E
	v_mov_b32_e32 v205, v204                                   // 0000000074F4: 7F9A03CC
	v_pk_fma_f32 v[4:5], v[4:5], s[46:47], v[204:205]          // 0000000074F8: D3B04004 1F305D04
	v_pk_fma_f32 v[6:7], v[6:7], s[46:47], v[204:205]          // 000000007500: D3B04006 1F305D06
	v_exp_f32_e32 v4, v4                                       // 000000007508: 7E084104
	v_exp_f32_e32 v5, v5                                       // 00000000750C: 7E0A4105
	v_exp_f32_e32 v6, v6                                       // 000000007510: 7E0C4106
	v_exp_f32_e32 v7, v7                                       // 000000007514: 7E0E4107
	v_pk_fma_f32 v[8:9], v[8:9], s[46:47], v[204:205]          // 000000007518: D3B04008 1F305D08
	v_pk_fma_f32 v[10:11], v[10:11], s[46:47], v[204:205]      // 000000007520: D3B0400A 1F305D0A
	v_exp_f32_e32 v8, v8                                       // 000000007528: 7E104108
	v_exp_f32_e32 v9, v9                                       // 00000000752C: 7E124109
	v_exp_f32_e32 v10, v10                                     // 000000007530: 7E14410A
	v_exp_f32_e32 v11, v11                                     // 000000007534: 7E16410B
	v_pk_fma_f32 v[12:13], v[12:13], s[46:47], v[204:205]      // 000000007538: D3B0400C 1F305D0C
	v_pk_fma_f32 v[14:15], v[14:15], s[46:47], v[204:205]      // 000000007540: D3B0400E 1F305D0E
	v_exp_f32_e32 v12, v12                                     // 000000007548: 7E18410C
	v_exp_f32_e32 v13, v13                                     // 00000000754C: 7E1A410D
	v_exp_f32_e32 v14, v14                                     // 000000007550: 7E1C410E
	v_exp_f32_e32 v15, v15                                     // 000000007554: 7E1E410F
	v_pk_fma_f32 v[16:17], v[16:17], s[46:47], v[204:205]      // 000000007558: D3B04010 1F305D10
	v_pk_fma_f32 v[18:19], v[18:19], s[46:47], v[204:205]      // 000000007560: D3B04012 1F305D12
	v_exp_f32_e32 v16, v16                                     // 000000007568: 7E204110
	v_exp_f32_e32 v17, v17                                     // 00000000756C: 7E224111
	v_exp_f32_e32 v18, v18                                     // 000000007570: 7E244112
	v_exp_f32_e32 v19, v19                                     // 000000007574: 7E264113
	v_max_f32_e32 v168, v183, v165                             // 000000007578: 17514BB7
	v_mul_f32_e64 v204, -s46, v168                             // 00000000757C: D10500CC 2003502E
	v_mov_b32_e32 v205, v204                                   // 000000007584: 7F9A03CC
	v_pk_fma_f32 v[20:21], v[20:21], s[46:47], v[204:205]      // 000000007588: D3B04014 1F305D14
	v_pk_fma_f32 v[22:23], v[22:23], s[46:47], v[204:205]      // 000000007590: D3B04016 1F305D16
	v_exp_f32_e32 v20, v20                                     // 000000007598: 7E284114
	v_exp_f32_e32 v21, v21                                     // 00000000759C: 7E2A4115
	v_exp_f32_e32 v22, v22                                     // 0000000075A0: 7E2C4116
	v_exp_f32_e32 v23, v23                                     // 0000000075A4: 7E2E4117
	v_pk_fma_f32 v[24:25], v[24:25], s[46:47], v[204:205]      // 0000000075A8: D3B04018 1F305D18
	v_pk_fma_f32 v[26:27], v[26:27], s[46:47], v[204:205]      // 0000000075B0: D3B0401A 1F305D1A
	v_exp_f32_e32 v24, v24                                     // 0000000075B8: 7E304118
	v_exp_f32_e32 v25, v25                                     // 0000000075BC: 7E324119
	v_exp_f32_e32 v26, v26                                     // 0000000075C0: 7E34411A
	v_exp_f32_e32 v27, v27                                     // 0000000075C4: 7E36411B
	v_pk_fma_f32 v[28:29], v[28:29], s[46:47], v[204:205]      // 0000000075C8: D3B0401C 1F305D1C
	v_pk_fma_f32 v[30:31], v[30:31], s[46:47], v[204:205]      // 0000000075D0: D3B0401E 1F305D1E
	v_exp_f32_e32 v28, v28                                     // 0000000075D8: 7E38411C
	v_exp_f32_e32 v29, v29                                     // 0000000075DC: 7E3A411D
	v_exp_f32_e32 v30, v30                                     // 0000000075E0: 7E3C411E
	v_exp_f32_e32 v31, v31                                     // 0000000075E4: 7E3E411F
	v_pk_fma_f32 v[32:33], v[32:33], s[46:47], v[204:205]      // 0000000075E8: D3B04020 1F305D20
	v_pk_fma_f32 v[34:35], v[34:35], s[46:47], v[204:205]      // 0000000075F0: D3B04022 1F305D22
	v_exp_f32_e32 v32, v32                                     // 0000000075F8: 7E404120
	v_exp_f32_e32 v33, v33                                     // 0000000075FC: 7E424121
	v_exp_f32_e32 v34, v34                                     // 000000007600: 7E444122
	v_exp_f32_e32 v35, v35                                     // 000000007604: 7E464123
	v_max_f32_e32 v169, v184, v166                             // 000000007608: 17534DB8
	v_mul_f32_e64 v204, -s46, v169                             // 00000000760C: D10500CC 2003522E
	v_mov_b32_e32 v205, v204                                   // 000000007614: 7F9A03CC
	v_pk_fma_f32 v[36:37], v[36:37], s[46:47], v[204:205]      // 000000007618: D3B04024 1F305D24
	v_pk_fma_f32 v[38:39], v[38:39], s[46:47], v[204:205]      // 000000007620: D3B04026 1F305D26
	v_exp_f32_e32 v36, v36                                     // 000000007628: 7E484124
	v_exp_f32_e32 v37, v37                                     // 00000000762C: 7E4A4125
	v_exp_f32_e32 v38, v38                                     // 000000007630: 7E4C4126
	v_exp_f32_e32 v39, v39                                     // 000000007634: 7E4E4127
	v_pk_fma_f32 v[40:41], v[40:41], s[46:47], v[204:205]      // 000000007638: D3B04028 1F305D28
	v_pk_fma_f32 v[42:43], v[42:43], s[46:47], v[204:205]      // 000000007640: D3B0402A 1F305D2A
	v_exp_f32_e32 v40, v40                                     // 000000007648: 7E504128
	v_exp_f32_e32 v41, v41                                     // 00000000764C: 7E524129
	v_exp_f32_e32 v42, v42                                     // 000000007650: 7E54412A
	v_exp_f32_e32 v43, v43                                     // 000000007654: 7E56412B
	v_pk_fma_f32 v[44:45], v[44:45], s[46:47], v[204:205]      // 000000007658: D3B0402C 1F305D2C
	v_pk_fma_f32 v[46:47], v[46:47], s[46:47], v[204:205]      // 000000007660: D3B0402E 1F305D2E
	v_exp_f32_e32 v44, v44                                     // 000000007668: 7E58412C
	v_exp_f32_e32 v45, v45                                     // 00000000766C: 7E5A412D
	v_exp_f32_e32 v46, v46                                     // 000000007670: 7E5C412E
	v_exp_f32_e32 v47, v47                                     // 000000007674: 7E5E412F
	v_pk_fma_f32 v[48:49], v[48:49], s[46:47], v[204:205]      // 000000007678: D3B04030 1F305D30
	v_pk_fma_f32 v[50:51], v[50:51], s[46:47], v[204:205]      // 000000007680: D3B04032 1F305D32
	v_exp_f32_e32 v48, v48                                     // 000000007688: 7E604130
	v_exp_f32_e32 v49, v49                                     // 00000000768C: 7E624131
	v_exp_f32_e32 v50, v50                                     // 000000007690: 7E644132
	v_exp_f32_e32 v51, v51                                     // 000000007694: 7E664133
	v_mul_f32_dpp v52, v157, v4 row_newbcast:0 row_mask:0xf bank_mask:0xf// 000000007698: 0A6808FA FF01509D
	v_mul_f32_dpp v53, v157, v5 row_newbcast:1 row_mask:0xf bank_mask:0xf// 0000000076A0: 0A6A0AFA FF01519D
	v_mul_f32_dpp v54, v157, v6 row_newbcast:2 row_mask:0xf bank_mask:0xf// 0000000076A8: 0A6C0CFA FF01529D
	v_mul_f32_dpp v55, v157, v7 row_newbcast:3 row_mask:0xf bank_mask:0xf// 0000000076B0: 0A6E0EFA FF01539D
	v_mul_f32_dpp v56, v157, v8 row_newbcast:4 row_mask:0xf bank_mask:0xf// 0000000076B8: 0A7010FA FF01549D
	v_mul_f32_dpp v57, v157, v9 row_newbcast:5 row_mask:0xf bank_mask:0xf// 0000000076C0: 0A7212FA FF01559D
	v_mul_f32_dpp v58, v157, v10 row_newbcast:6 row_mask:0xf bank_mask:0xf// 0000000076C8: 0A7414FA FF01569D
	v_mul_f32_dpp v59, v157, v11 row_newbcast:7 row_mask:0xf bank_mask:0xf// 0000000076D0: 0A7616FA FF01579D
	v_mul_f32_dpp v60, v157, v12 row_newbcast:8 row_mask:0xf bank_mask:0xf// 0000000076D8: 0A7818FA FF01589D
	v_mul_f32_dpp v61, v157, v13 row_newbcast:9 row_mask:0xf bank_mask:0xf// 0000000076E0: 0A7A1AFA FF01599D
	v_mul_f32_dpp v62, v157, v14 row_newbcast:10 row_mask:0xf bank_mask:0xf// 0000000076E8: 0A7C1CFA FF015A9D
	v_mul_f32_dpp v63, v157, v15 row_newbcast:11 row_mask:0xf bank_mask:0xf// 0000000076F0: 0A7E1EFA FF015B9D
	v_mul_f32_dpp v64, v157, v16 row_newbcast:12 row_mask:0xf bank_mask:0xf// 0000000076F8: 0A8020FA FF015C9D
	v_mul_f32_dpp v65, v157, v17 row_newbcast:13 row_mask:0xf bank_mask:0xf// 000000007700: 0A8222FA FF015D9D
	v_mul_f32_dpp v66, v157, v18 row_newbcast:14 row_mask:0xf bank_mask:0xf// 000000007708: 0A8424FA FF015E9D
	v_mul_f32_dpp v67, v157, v19 row_newbcast:15 row_mask:0xf bank_mask:0xf// 000000007710: 0A8626FA FF015F9D
	v_mul_f32_dpp v68, v157, v20 row_newbcast:0 row_mask:0xf bank_mask:0xf// 000000007718: 0A8828FA FF01509D
	v_mul_f32_dpp v69, v157, v21 row_newbcast:1 row_mask:0xf bank_mask:0xf// 000000007720: 0A8A2AFA FF01519D
	v_mul_f32_dpp v70, v157, v22 row_newbcast:2 row_mask:0xf bank_mask:0xf// 000000007728: 0A8C2CFA FF01529D
	v_mul_f32_dpp v71, v157, v23 row_newbcast:3 row_mask:0xf bank_mask:0xf// 000000007730: 0A8E2EFA FF01539D
	v_mul_f32_dpp v72, v157, v24 row_newbcast:4 row_mask:0xf bank_mask:0xf// 000000007738: 0A9030FA FF01549D
	v_mul_f32_dpp v73, v157, v25 row_newbcast:5 row_mask:0xf bank_mask:0xf// 000000007740: 0A9232FA FF01559D
	v_mul_f32_dpp v74, v157, v26 row_newbcast:6 row_mask:0xf bank_mask:0xf// 000000007748: 0A9434FA FF01569D
	v_mul_f32_dpp v75, v157, v27 row_newbcast:7 row_mask:0xf bank_mask:0xf// 000000007750: 0A9636FA FF01579D
	v_mul_f32_dpp v76, v157, v28 row_newbcast:8 row_mask:0xf bank_mask:0xf// 000000007758: 0A9838FA FF01589D
	v_mul_f32_dpp v77, v157, v29 row_newbcast:9 row_mask:0xf bank_mask:0xf// 000000007760: 0A9A3AFA FF01599D
	v_mul_f32_dpp v78, v157, v30 row_newbcast:10 row_mask:0xf bank_mask:0xf// 000000007768: 0A9C3CFA FF015A9D
	v_mul_f32_dpp v79, v157, v31 row_newbcast:11 row_mask:0xf bank_mask:0xf// 000000007770: 0A9E3EFA FF015B9D
	v_mul_f32_dpp v80, v157, v32 row_newbcast:12 row_mask:0xf bank_mask:0xf// 000000007778: 0AA040FA FF015C9D
	v_mul_f32_dpp v81, v157, v33 row_newbcast:13 row_mask:0xf bank_mask:0xf// 000000007780: 0AA242FA FF015D9D
	v_mul_f32_dpp v82, v157, v34 row_newbcast:14 row_mask:0xf bank_mask:0xf// 000000007788: 0AA444FA FF015E9D
	v_mul_f32_dpp v83, v157, v35 row_newbcast:15 row_mask:0xf bank_mask:0xf// 000000007790: 0AA646FA FF015F9D
	v_mul_f32_dpp v84, v157, v36 row_newbcast:0 row_mask:0xf bank_mask:0xf// 000000007798: 0AA848FA FF01509D
	v_mul_f32_dpp v85, v157, v37 row_newbcast:1 row_mask:0xf bank_mask:0xf// 0000000077A0: 0AAA4AFA FF01519D
	v_mul_f32_dpp v86, v157, v38 row_newbcast:2 row_mask:0xf bank_mask:0xf// 0000000077A8: 0AAC4CFA FF01529D
	v_mul_f32_dpp v87, v157, v39 row_newbcast:3 row_mask:0xf bank_mask:0xf// 0000000077B0: 0AAE4EFA FF01539D
	v_mul_f32_dpp v88, v157, v40 row_newbcast:4 row_mask:0xf bank_mask:0xf// 0000000077B8: 0AB050FA FF01549D
	v_mul_f32_dpp v89, v157, v41 row_newbcast:5 row_mask:0xf bank_mask:0xf// 0000000077C0: 0AB252FA FF01559D
	v_mul_f32_dpp v90, v157, v42 row_newbcast:6 row_mask:0xf bank_mask:0xf// 0000000077C8: 0AB454FA FF01569D
	v_mul_f32_dpp v91, v157, v43 row_newbcast:7 row_mask:0xf bank_mask:0xf// 0000000077D0: 0AB656FA FF01579D
	v_mul_f32_dpp v92, v157, v44 row_newbcast:8 row_mask:0xf bank_mask:0xf// 0000000077D8: 0AB858FA FF01589D
	v_mul_f32_dpp v93, v157, v45 row_newbcast:9 row_mask:0xf bank_mask:0xf// 0000000077E0: 0ABA5AFA FF01599D
	v_mul_f32_dpp v94, v157, v46 row_newbcast:10 row_mask:0xf bank_mask:0xf// 0000000077E8: 0ABC5CFA FF015A9D
	v_mul_f32_dpp v95, v157, v47 row_newbcast:11 row_mask:0xf bank_mask:0xf// 0000000077F0: 0ABE5EFA FF015B9D
	v_mul_f32_dpp v96, v157, v48 row_newbcast:12 row_mask:0xf bank_mask:0xf// 0000000077F8: 0AC060FA FF015C9D
	v_mul_f32_dpp v97, v157, v49 row_newbcast:13 row_mask:0xf bank_mask:0xf// 000000007800: 0AC262FA FF015D9D
	v_mul_f32_dpp v98, v157, v50 row_newbcast:14 row_mask:0xf bank_mask:0xf// 000000007808: 0AC464FA FF015E9D
	v_mul_f32_dpp v99, v157, v51 row_newbcast:15 row_mask:0xf bank_mask:0xf// 000000007810: 0AC666FA FF015F9D
	v_mov_b32_e32 v182, 0x358637bd                             // 000000007818: 7F6C02FF 358637BD
	v_max3_f32 v182, |v52|, |v53|, v182                        // 000000007820: D1D303B6 06DA6B34
	v_max3_f32 v182, |v54|, |v55|, v182                        // 000000007828: D1D303B6 06DA6F36
	v_max3_f32 v182, |v56|, |v57|, v182                        // 000000007830: D1D303B6 06DA7338
	v_max3_f32 v182, |v58|, |v59|, v182                        // 000000007838: D1D303B6 06DA773A
	v_max3_f32 v182, |v60|, |v61|, v182                        // 000000007840: D1D303B6 06DA7B3C
	v_max3_f32 v182, |v62|, |v63|, v182                        // 000000007848: D1D303B6 06DA7F3E
	v_max3_f32 v182, |v64|, |v65|, v182                        // 000000007850: D1D303B6 06DA8340
	v_max3_f32 v182, |v66|, |v67|, v182                        // 000000007858: D1D303B6 06DA8742
	v_mov_b32_e32 v183, 0x358637bd                             // 000000007860: 7F6E02FF 358637BD
	v_max3_f32 v183, |v68|, |v69|, v183                        // 000000007868: D1D303B7 06DE8B44
	v_max3_f32 v183, |v70|, |v71|, v183                        // 000000007870: D1D303B7 06DE8F46
	v_max3_f32 v183, |v72|, |v73|, v183                        // 000000007878: D1D303B7 06DE9348
	v_max3_f32 v183, |v74|, |v75|, v183                        // 000000007880: D1D303B7 06DE974A
	v_max3_f32 v183, |v76|, |v77|, v183                        // 000000007888: D1D303B7 06DE9B4C
	v_max3_f32 v183, |v78|, |v79|, v183                        // 000000007890: D1D303B7 06DE9F4E
	v_max3_f32 v183, |v80|, |v81|, v183                        // 000000007898: D1D303B7 06DEA350
	v_max3_f32 v183, |v82|, |v83|, v183                        // 0000000078A0: D1D303B7 06DEA752
	v_mov_b32_e32 v184, 0x358637bd                             // 0000000078A8: 7F7002FF 358637BD
	v_max3_f32 v184, |v84|, |v85|, v184                        // 0000000078B0: D1D303B8 06E2AB54
	v_max3_f32 v184, |v86|, |v87|, v184                        // 0000000078B8: D1D303B8 06E2AF56
	v_max3_f32 v184, |v88|, |v89|, v184                        // 0000000078C0: D1D303B8 06E2B358
	v_max3_f32 v184, |v90|, |v91|, v184                        // 0000000078C8: D1D303B8 06E2B75A
	v_max3_f32 v184, |v92|, |v93|, v184                        // 0000000078D0: D1D303B8 06E2BB5C
	v_max3_f32 v184, |v94|, |v95|, v184                        // 0000000078D8: D1D303B8 06E2BF5E
	v_max3_f32 v184, |v96|, |v97|, v184                        // 0000000078E0: D1D303B8 06E2C360
	v_max3_f32 v184, |v98|, |v99|, v184                        // 0000000078E8: D1D303B8 06E2C762
	ds_bpermute_b32 v188, v208, v182                           // 0000000078F0: D87E0000 BC00B6D0
	ds_bpermute_b32 v189, v209, v182                           // 0000000078F8: D87E0000 BD00B6D1
	ds_bpermute_b32 v190, v210, v182                           // 000000007900: D87E0000 BE00B6D2
	ds_bpermute_b32 v191, v208, v183                           // 000000007908: D87E0000 BF00B7D0
	ds_bpermute_b32 v192, v209, v183                           // 000000007910: D87E0000 C000B7D1
	ds_bpermute_b32 v193, v210, v183                           // 000000007918: D87E0000 C100B7D2
	ds_bpermute_b32 v194, v208, v184                           // 000000007920: D87E0000 C200B8D0
	ds_bpermute_b32 v195, v209, v184                           // 000000007928: D87E0000 C300B8D1
	ds_bpermute_b32 v196, v210, v184                           // 000000007930: D87E0000 C400B8D2
	s_waitcnt lgkmcnt(6)                                       // 000000007938: BF8CC67F
	v_max3_f32 v182, v188, v189, v182                          // 00000000793C: D1D300B6 06DB7BBC
	v_max_f32_e32 v182, v190, v182                             // 000000007944: 176D6DBE
	s_waitcnt lgkmcnt(3)                                       // 000000007948: BF8CC37F
	v_max3_f32 v183, v191, v192, v183                          // 00000000794C: D1D300B7 06DF81BF
	v_max_f32_e32 v183, v193, v183                             // 000000007954: 176F6FC1
	s_waitcnt lgkmcnt(0)                                       // 000000007958: BF8CC07F
	v_max3_f32 v184, v194, v195, v184                          // 00000000795C: D1D300B8 06E387C2
	v_max_f32_e32 v184, v196, v184                             // 000000007964: 177171C4
	ds_write_b128 v249, v[182:185] offset:4096                 // 000000007968: D9BE1000 0000B6F9
	buffer_load_dword v154, v235, s[20:23], 0 offen            // 000000007970: E0501000 80059AEB
	v_sub_f32_e32 v170, v164, v167                             // 000000007978: 05554FA4
	v_cmp_eq_u32_e64 s[98:99], v222, v164                      // 00000000797C: D0CA0062 000349DE
	v_cndmask_b32_e64 v170, v170, 0, s[98:99]                  // 000000007984: D10000AA 018901AA
	v_mov_b32_e32 v164, v167                                   // 00000000798C: 7F4803A7
	v_mul_f32_e32 v170, s46, v170                              // 000000007990: 0B55542E
	v_exp_f32_e32 v170, v170                                   // 000000007994: 7F5441AA
	v_sub_f32_e32 v172, v165, v168                             // 000000007998: 055951A5
	v_cmp_eq_u32_e64 s[98:99], v222, v165                      // 00000000799C: D0CA0062 00034BDE
	v_cndmask_b32_e64 v172, v172, 0, s[98:99]                  // 0000000079A4: D10000AC 018901AC
	v_mov_b32_e32 v165, v168                                   // 0000000079AC: 7F4A03A8
	v_mul_f32_e32 v172, s46, v172                              // 0000000079B0: 0B59582E
	v_exp_f32_e32 v172, v172                                   // 0000000079B4: 7F5841AC
	v_sub_f32_e32 v174, v166, v169                             // 0000000079B8: 055D53A6
	v_cmp_eq_u32_e64 s[98:99], v222, v166                      // 0000000079BC: D0CA0062 00034DDE
	v_cndmask_b32_e64 v174, v174, 0, s[98:99]                  // 0000000079C4: D10000AE 018901AE
	v_mov_b32_e32 v166, v169                                   // 0000000079CC: 7F4C03A9
	v_mul_f32_e32 v174, s46, v174                              // 0000000079D0: 0B5D5C2E
	v_exp_f32_e32 v174, v174                                   // 0000000079D4: 7F5C41AE
	v_mov_b32_e32 v171, v170                                   // 0000000079D8: 7F5603AA
	v_mov_b32_e32 v173, v172                                   // 0000000079DC: 7F5A03AC
	v_mov_b32_e32 v175, v174                                   // 0000000079E0: 7F5E03AE
	s_waitcnt lgkmcnt(0)                                       // 0000000079E4: BF8CC07F
	s_barrier                                                  // 0000000079E8: BF8A0000
	ds_read_b128 v[188:191], v250 offset:4096                  // 0000000079EC: D9FE1000 BC0000FA
	ds_read_b128 v[192:195], v250 offset:4352                  // 0000000079F4: D9FE1100 C00000FA
	ds_read_b128 v[196:199], v250 offset:4608                  // 0000000079FC: D9FE1200 C40000FA
	ds_read_b128 v[200:203], v250 offset:4864                  // 000000007A04: D9FE1300 C80000FA
	buffer_load_dword v156, v236, s[24:27], 0 offen            // 000000007A0C: E0501000 80069CEC
	v_mul_f32_e32 v176, v170, v176                             // 000000007A14: 0B6161AA
	v_mov_b32_e32 v177, 0                                      // 000000007A18: 7F620280
	v_pk_add_f32 v[176:177], v[4:5], v[176:177]                // 000000007A1C: D3B240B0 18036104
	v_pk_add_f32 v[176:177], v[6:7], v[176:177]                // 000000007A24: D3B240B0 18036106
	v_pk_add_f32 v[176:177], v[8:9], v[176:177]                // 000000007A2C: D3B240B0 18036108
	v_pk_add_f32 v[176:177], v[10:11], v[176:177]              // 000000007A34: D3B240B0 1803610A
	v_pk_add_f32 v[176:177], v[12:13], v[176:177]              // 000000007A3C: D3B240B0 1803610C
	v_pk_add_f32 v[176:177], v[14:15], v[176:177]              // 000000007A44: D3B240B0 1803610E
	v_pk_add_f32 v[176:177], v[16:17], v[176:177]              // 000000007A4C: D3B240B0 18036110
	v_pk_add_f32 v[176:177], v[18:19], v[176:177]              // 000000007A54: D3B240B0 18036112
	v_add_f32_e32 v176, v177, v176                             // 000000007A5C: 036161B1
	v_mul_f32_e32 v178, v172, v178                             // 000000007A60: 0B6565AC
	v_mov_b32_e32 v179, 0                                      // 000000007A64: 7F660280
	v_pk_add_f32 v[178:179], v[20:21], v[178:179]              // 000000007A68: D3B240B2 18036514
	v_pk_add_f32 v[178:179], v[22:23], v[178:179]              // 000000007A70: D3B240B2 18036516
	v_pk_add_f32 v[178:179], v[24:25], v[178:179]              // 000000007A78: D3B240B2 18036518
	v_pk_add_f32 v[178:179], v[26:27], v[178:179]              // 000000007A80: D3B240B2 1803651A
	v_pk_add_f32 v[178:179], v[28:29], v[178:179]              // 000000007A88: D3B240B2 1803651C
	v_pk_add_f32 v[178:179], v[30:31], v[178:179]              // 000000007A90: D3B240B2 1803651E
	v_pk_add_f32 v[178:179], v[32:33], v[178:179]              // 000000007A98: D3B240B2 18036520
	v_pk_add_f32 v[178:179], v[34:35], v[178:179]              // 000000007AA0: D3B240B2 18036522
	v_add_f32_e32 v178, v179, v178                             // 000000007AA8: 036565B3
	v_mul_f32_e32 v180, v174, v180                             // 000000007AAC: 0B6969AE
	v_mov_b32_e32 v181, 0                                      // 000000007AB0: 7F6A0280
	v_pk_add_f32 v[180:181], v[36:37], v[180:181]              // 000000007AB4: D3B240B4 18036924
	v_pk_add_f32 v[180:181], v[38:39], v[180:181]              // 000000007ABC: D3B240B4 18036926
	v_pk_add_f32 v[180:181], v[40:41], v[180:181]              // 000000007AC4: D3B240B4 18036928
	v_pk_add_f32 v[180:181], v[42:43], v[180:181]              // 000000007ACC: D3B240B4 1803692A
	v_pk_add_f32 v[180:181], v[44:45], v[180:181]              // 000000007AD4: D3B240B4 1803692C
	v_pk_add_f32 v[180:181], v[46:47], v[180:181]              // 000000007ADC: D3B240B4 1803692E
	v_pk_add_f32 v[180:181], v[48:49], v[180:181]              // 000000007AE4: D3B240B4 18036930
	v_pk_add_f32 v[180:181], v[50:51], v[180:181]              // 000000007AEC: D3B240B4 18036932
	v_add_f32_e32 v180, v181, v180                             // 000000007AF4: 036969B5
	s_waitcnt lgkmcnt(0)                                       // 000000007AF8: BF8CC07F
	v_max3_f32 v182, v188, v192, v182                          // 000000007AFC: D1D300B6 06DB81BC
	v_max3_f32 v183, v189, v193, v183                          // 000000007B04: D1D300B7 06DF83BD
	v_max3_f32 v184, v190, v194, v184                          // 000000007B0C: D1D300B8 06E385BE
	v_max3_f32 v182, v196, v200, v182                          // 000000007B14: D1D300B6 06DB91C4
	v_max3_f32 v183, v197, v201, v183                          // 000000007B1C: D1D300B7 06DF93C5
	v_max3_f32 v184, v198, v202, v184                          // 000000007B24: D1D300B8 06E395C6
	v_rcp_f32_e32 v182, v182                                   // 000000007B2C: 7F6C45B6
	v_rcp_f32_e32 v183, v183                                   // 000000007B30: 7F6E45B7
	v_rcp_f32_e32 v184, v184                                   // 000000007B34: 7F7045B8
	v_mul_f32_e32 v182, 0x43700000, v182                       // 000000007B38: 0B6D6CFF 43700000
	v_mul_f32_e32 v183, 0x43700000, v183                       // 000000007B40: 0B6F6EFF 43700000
	v_mul_f32_e32 v184, 0x43700000, v184                       // 000000007B48: 0B7170FF 43700000
	v_mov_b32_e32 v186, v184                                   // 000000007B50: 7F7403B8
	v_mov_b32_e32 v187, v184                                   // 000000007B54: 7F7603B8
	v_mov_b32_e32 v184, v183                                   // 000000007B58: 7F7003B7
	v_mov_b32_e32 v185, v183                                   // 000000007B5C: 7F7203B7
	v_mov_b32_e32 v183, v182                                   // 000000007B60: 7F6E03B6
	v_pk_mul_f32 v[4:5], v[182:183], v[52:53]                  // 000000007B64: D3B14004 180269B6
	v_pk_mul_f32 v[6:7], v[182:183], v[54:55]                  // 000000007B6C: D3B14006 18026DB6
	v_pk_mul_f32 v[8:9], v[182:183], v[56:57]                  // 000000007B74: D3B14008 180271B6
	v_pk_mul_f32 v[10:11], v[182:183], v[58:59]                // 000000007B7C: D3B1400A 180275B6
	v_pk_mul_f32 v[12:13], v[182:183], v[60:61]                // 000000007B84: D3B1400C 180279B6
	v_pk_mul_f32 v[14:15], v[182:183], v[62:63]                // 000000007B8C: D3B1400E 18027DB6
	v_pk_mul_f32 v[16:17], v[182:183], v[64:65]                // 000000007B94: D3B14010 180281B6
	v_pk_mul_f32 v[18:19], v[182:183], v[66:67]                // 000000007B9C: D3B14012 180285B6
	v_pk_mul_f32 v[20:21], v[184:185], v[68:69]                // 000000007BA4: D3B14014 180289B8
	v_pk_mul_f32 v[22:23], v[184:185], v[70:71]                // 000000007BAC: D3B14016 18028DB8
	v_pk_mul_f32 v[24:25], v[184:185], v[72:73]                // 000000007BB4: D3B14018 180291B8
	v_pk_mul_f32 v[26:27], v[184:185], v[74:75]                // 000000007BBC: D3B1401A 180295B8
	v_pk_mul_f32 v[28:29], v[184:185], v[76:77]                // 000000007BC4: D3B1401C 180299B8
	v_pk_mul_f32 v[30:31], v[184:185], v[78:79]                // 000000007BCC: D3B1401E 18029DB8
	v_pk_mul_f32 v[32:33], v[184:185], v[80:81]                // 000000007BD4: D3B14020 1802A1B8
	v_pk_mul_f32 v[34:35], v[184:185], v[82:83]                // 000000007BDC: D3B14022 1802A5B8
	v_pk_mul_f32 v[36:37], v[186:187], v[84:85]                // 000000007BE4: D3B14024 1802A9BA
	v_pk_mul_f32 v[38:39], v[186:187], v[86:87]                // 000000007BEC: D3B14026 1802ADBA
	v_pk_mul_f32 v[40:41], v[186:187], v[88:89]                // 000000007BF4: D3B14028 1802B1BA
	v_pk_mul_f32 v[42:43], v[186:187], v[90:91]                // 000000007BFC: D3B1402A 1802B5BA
	v_pk_mul_f32 v[44:45], v[186:187], v[92:93]                // 000000007C04: D3B1402C 1802B9BA
	v_pk_mul_f32 v[46:47], v[186:187], v[94:95]                // 000000007C0C: D3B1402E 1802BDBA
	v_pk_mul_f32 v[48:49], v[186:187], v[96:97]                // 000000007C14: D3B14030 1802C1BA
	v_pk_mul_f32 v[50:51], v[186:187], v[98:99]                // 000000007C1C: D3B14032 1802C5BA
	v_cvt_pk_fp8_f32 v4, v4, v5                                // 000000007C24: D2A20004 00020B04
	v_cvt_pk_fp8_f32 v4, v6, v7 op_sel:[0,0,1]                 // 000000007C2C: D2A24004 00020F06
	v_cvt_pk_fp8_f32 v5, v8, v9                                // 000000007C34: D2A20005 00021308
	v_cvt_pk_fp8_f32 v5, v10, v11 op_sel:[0,0,1]               // 000000007C3C: D2A24005 0002170A
	v_cvt_pk_fp8_f32 v6, v12, v13                              // 000000007C44: D2A20006 00021B0C
	v_cvt_pk_fp8_f32 v6, v14, v15 op_sel:[0,0,1]               // 000000007C4C: D2A24006 00021F0E
	v_cvt_pk_fp8_f32 v7, v16, v17                              // 000000007C54: D2A20007 00022310
	v_cvt_pk_fp8_f32 v7, v18, v19 op_sel:[0,0,1]               // 000000007C5C: D2A24007 00022712
	v_cvt_pk_fp8_f32 v8, v20, v21                              // 000000007C64: D2A20008 00022B14
	v_cvt_pk_fp8_f32 v8, v22, v23 op_sel:[0,0,1]               // 000000007C6C: D2A24008 00022F16
	v_cvt_pk_fp8_f32 v9, v24, v25                              // 000000007C74: D2A20009 00023318
	v_cvt_pk_fp8_f32 v9, v26, v27 op_sel:[0,0,1]               // 000000007C7C: D2A24009 0002371A
	v_cvt_pk_fp8_f32 v10, v28, v29                             // 000000007C84: D2A2000A 00023B1C
	v_cvt_pk_fp8_f32 v10, v30, v31 op_sel:[0,0,1]              // 000000007C8C: D2A2400A 00023F1E
	v_cvt_pk_fp8_f32 v11, v32, v33                             // 000000007C94: D2A2000B 00024320
	v_cvt_pk_fp8_f32 v11, v34, v35 op_sel:[0,0,1]              // 000000007C9C: D2A2400B 00024722
	v_cvt_pk_fp8_f32 v12, v36, v37                             // 000000007CA4: D2A2000C 00024B24
	v_cvt_pk_fp8_f32 v12, v38, v39 op_sel:[0,0,1]              // 000000007CAC: D2A2400C 00024F26
	v_cvt_pk_fp8_f32 v13, v40, v41                             // 000000007CB4: D2A2000D 00025328
	v_cvt_pk_fp8_f32 v13, v42, v43 op_sel:[0,0,1]              // 000000007CBC: D2A2400D 0002572A
	v_cvt_pk_fp8_f32 v14, v44, v45                             // 000000007CC4: D2A2000E 00025B2C
	v_cvt_pk_fp8_f32 v14, v46, v47 op_sel:[0,0,1]              // 000000007CCC: D2A2400E 00025F2E
	v_cvt_pk_fp8_f32 v15, v48, v49                             // 000000007CD4: D2A2000F 00026330
	v_cvt_pk_fp8_f32 v15, v50, v51 op_sel:[0,0,1]              // 000000007CDC: D2A2400F 00026732
	ds_write_b32 v251, v4 offset:8192                          // 000000007CE4: D81A2000 000004FB
	ds_write_b32 v251, v5 offset:9216                          // 000000007CEC: D81A2400 000005FB
	ds_write_b32 v251, v6 offset:10240                         // 000000007CF4: D81A2800 000006FB
	ds_write_b32 v251, v7 offset:11264                         // 000000007CFC: D81A2C00 000007FB
	ds_write_b32 v251, v8 offset:12288                         // 000000007D04: D81A3000 000008FB
	ds_write_b32 v251, v9 offset:13312                         // 000000007D0C: D81A3400 000009FB
	ds_write_b32 v251, v10 offset:14336                        // 000000007D14: D81A3800 00000AFB
	ds_write_b32 v251, v11 offset:15360                        // 000000007D1C: D81A3C00 00000BFB
	ds_write_b32 v251, v12 offset:16384                        // 000000007D24: D81A4000 00000CFB
	ds_write_b32 v251, v13 offset:17408                        // 000000007D2C: D81A4400 00000DFB
	ds_write_b32 v251, v14 offset:18432                        // 000000007D34: D81A4800 00000EFB
	ds_write_b32 v251, v15 offset:19456                        // 000000007D3C: D81A4C00 00000FFB
	v_rcp_f32_e32 v158, v182                                   // 000000007D44: 7F3C45B6
	v_rcp_f32_e32 v160, v184                                   // 000000007D48: 7F4045B8
	v_rcp_f32_e32 v162, v186                                   // 000000007D4C: 7F4445BA
	v_mov_b32_e32 v159, v158                                   // 000000007D50: 7F3E039E
	v_mov_b32_e32 v161, v160                                   // 000000007D54: 7F4203A0
	v_mov_b32_e32 v163, v162                                   // 000000007D58: 7F4603A2
	v_pk_add_f32 v[124:125], v[124:125], v[100:101]            // 000000007D5C: D3B2407C 1802C97C
	v_pk_add_f32 v[126:127], v[126:127], v[102:103]            // 000000007D64: D3B2407E 1802CD7E
	v_pk_add_f32 v[128:129], v[128:129], v[104:105]            // 000000007D6C: D3B24080 1802D180
	v_pk_add_f32 v[130:131], v[130:131], v[106:107]            // 000000007D74: D3B24082 1802D582
	v_pk_add_f32 v[132:133], v[132:133], v[108:109]            // 000000007D7C: D3B24084 1802D984
	v_pk_add_f32 v[134:135], v[134:135], v[110:111]            // 000000007D84: D3B24086 1802DD86
	v_pk_add_f32 v[136:137], v[136:137], v[112:113]            // 000000007D8C: D3B24088 1802E188
	v_pk_add_f32 v[138:139], v[138:139], v[114:115]            // 000000007D94: D3B2408A 1802E58A
	v_pk_add_f32 v[140:141], v[140:141], v[116:117]            // 000000007D9C: D3B2408C 1802E98C
	v_pk_add_f32 v[142:143], v[142:143], v[118:119]            // 000000007DA4: D3B2408E 1802ED8E
	v_pk_add_f32 v[144:145], v[144:145], v[120:121]            // 000000007DAC: D3B24090 1802F190
	v_pk_add_f32 v[146:147], v[146:147], v[122:123]            // 000000007DB4: D3B24092 1802F592
	s_waitcnt lgkmcnt(0)                                       // 000000007DBC: BF8CC07F
	s_barrier                                                  // 000000007DC0: BF8A0000
	ds_read_b128 v[4:7], v252 offset:8192                      // 000000007DC4: D9FE2000 040000FC
	ds_read_b128 v[8:11], v252 offset:9216                     // 000000007DCC: D9FE2400 080000FC
	ds_read_b128 v[12:15], v252 offset:10240                   // 000000007DD4: D9FE2800 0C0000FC
	ds_read_b128 v[16:19], v252 offset:11264                   // 000000007DDC: D9FE2C00 100000FC
	ds_read_b128 v[20:23], v252 offset:12288                   // 000000007DE4: D9FE3000 140000FC
	ds_read_b128 v[24:27], v252 offset:13312                   // 000000007DEC: D9FE3400 180000FC
	ds_read_b128 v[28:31], v252 offset:14336                   // 000000007DF4: D9FE3800 1C0000FC
	ds_read_b128 v[32:35], v252 offset:15360                   // 000000007DFC: D9FE3C00 200000FC
	ds_read_b128 v[36:39], v252 offset:16384                   // 000000007E04: D9FE4000 240000FC
	ds_read_b128 v[40:43], v252 offset:17408                   // 000000007E0C: D9FE4400 280000FC
	ds_read_b128 v[44:47], v252 offset:18432                   // 000000007E14: D9FE4800 2C0000FC
	ds_read_b128 v[48:51], v252 offset:19456                   // 000000007E1C: D9FE4C00 300000FC
	s_waitcnt vmcnt(10)                                        // 000000007E24: BF8C0F7A
	s_waitcnt lgkmcnt(11)                                      // 000000007E28: BF8CCB7F
	v_mfma_f32_16x16x32_fp8_fp8 v[100:103], a[120:121], v[4:5], 0// 000000007E2C: D3F30064 0A020978
	v_mfma_f32_16x16x32_fp8_fp8 v[104:107], a[136:137], v[4:5], 0// 000000007E34: D3F30068 0A020988
	v_mfma_f32_16x16x32_fp8_fp8 v[100:103], a[122:123], v[6:7], v[100:103]// 000000007E3C: D3F30064 0D920D7A
	buffer_load_dwordx4 a[88:91], v231, s[16:19], 0 offen      // 000000007E44: E05C1000 808458E7
	v_mfma_f32_16x16x32_fp8_fp8 v[104:107], a[138:139], v[6:7], v[104:107]// 000000007E4C: D3F30068 0DA20D8A
	s_waitcnt lgkmcnt(10)                                      // 000000007E54: BF8CCA7F
	v_mfma_f32_16x16x32_fp8_fp8 v[100:103], a[124:125], v[8:9], v[100:103]// 000000007E58: D3F30064 0D92117C
	v_mfma_f32_16x16x32_fp8_fp8 v[104:107], a[140:141], v[8:9], v[104:107]// 000000007E60: D3F30068 0DA2118C
	v_mfma_f32_16x16x32_fp8_fp8 v[100:103], a[126:127], v[10:11], v[100:103]// 000000007E68: D3F30064 0D92157E
	buffer_load_dwordx4 a[92:95], v232, s[16:19], 0 offen      // 000000007E70: E05C1000 80845CE8
	v_mfma_f32_16x16x32_fp8_fp8 v[104:107], a[142:143], v[10:11], v[104:107]// 000000007E78: D3F30068 0DA2158E
	s_waitcnt lgkmcnt(9)                                       // 000000007E80: BF8CC97F
	v_mfma_f32_16x16x32_fp8_fp8 v[100:103], a[128:129], v[12:13], v[100:103]// 000000007E84: D3F30064 0D921980
	v_mfma_f32_16x16x32_fp8_fp8 v[104:107], a[144:145], v[12:13], v[104:107]// 000000007E8C: D3F30068 0DA21990
	v_mfma_f32_16x16x32_fp8_fp8 v[100:103], a[130:131], v[14:15], v[100:103]// 000000007E94: D3F30064 0D921D82
	buffer_load_dwordx4 a[96:99], v233, s[16:19], 0 offen      // 000000007E9C: E05C1000 808460E9
	v_mfma_f32_16x16x32_fp8_fp8 v[104:107], a[146:147], v[14:15], v[104:107]// 000000007EA4: D3F30068 0DA21D92
	s_waitcnt lgkmcnt(8)                                       // 000000007EAC: BF8CC87F
	v_mfma_f32_16x16x32_fp8_fp8 v[100:103], a[132:133], v[16:17], v[100:103]// 000000007EB0: D3F30064 0D922184
	v_mfma_f32_16x16x32_fp8_fp8 v[104:107], a[148:149], v[16:17], v[104:107]// 000000007EB8: D3F30068 0DA22194
	v_mfma_f32_16x16x32_fp8_fp8 v[100:103], a[134:135], v[18:19], v[100:103]// 000000007EC0: D3F30064 0D922586
	buffer_load_dwordx4 a[100:103], v234, s[16:19], 0 offen    // 000000007EC8: E05C1000 808464EA
	v_mfma_f32_16x16x32_fp8_fp8 v[104:107], a[150:151], v[18:19], v[104:107]// 000000007ED0: D3F30068 0DA22596
	s_waitcnt lgkmcnt(7)                                       // 000000007ED8: BF8CC77F
	v_mfma_f32_16x16x32_fp8_fp8 v[108:111], a[120:121], v[20:21], 0// 000000007EDC: D3F3006C 0A022978
	v_mfma_f32_16x16x32_fp8_fp8 v[112:115], a[136:137], v[20:21], 0// 000000007EE4: D3F30070 0A022988
	v_mfma_f32_16x16x32_fp8_fp8 v[108:111], a[122:123], v[22:23], v[108:111]// 000000007EEC: D3F3006C 0DB22D7A
	buffer_load_dwordx4 a[104:107], v231, s[16:19], 0 offen offset:1024// 000000007EF4: E05C1400 808468E7
	v_mfma_f32_16x16x32_fp8_fp8 v[112:115], a[138:139], v[22:23], v[112:115]// 000000007EFC: D3F30070 0DC22D8A
	s_waitcnt lgkmcnt(6)                                       // 000000007F04: BF8CC67F
	v_mfma_f32_16x16x32_fp8_fp8 v[108:111], a[124:125], v[24:25], v[108:111]// 000000007F08: D3F3006C 0DB2317C
	v_mfma_f32_16x16x32_fp8_fp8 v[112:115], a[140:141], v[24:25], v[112:115]// 000000007F10: D3F30070 0DC2318C
	v_mfma_f32_16x16x32_fp8_fp8 v[108:111], a[126:127], v[26:27], v[108:111]// 000000007F18: D3F3006C 0DB2357E
	buffer_load_dwordx4 a[108:111], v232, s[16:19], 0 offen offset:1024// 000000007F20: E05C1400 80846CE8
	v_mfma_f32_16x16x32_fp8_fp8 v[112:115], a[142:143], v[26:27], v[112:115]// 000000007F28: D3F30070 0DC2358E
	s_waitcnt lgkmcnt(5)                                       // 000000007F30: BF8CC57F
	v_mfma_f32_16x16x32_fp8_fp8 v[108:111], a[128:129], v[28:29], v[108:111]// 000000007F34: D3F3006C 0DB23980
	v_mfma_f32_16x16x32_fp8_fp8 v[112:115], a[144:145], v[28:29], v[112:115]// 000000007F3C: D3F30070 0DC23990
	v_mfma_f32_16x16x32_fp8_fp8 v[108:111], a[130:131], v[30:31], v[108:111]// 000000007F44: D3F3006C 0DB23D82
	buffer_load_dwordx4 a[112:115], v233, s[16:19], 0 offen offset:1024// 000000007F4C: E05C1400 808470E9
	v_mfma_f32_16x16x32_fp8_fp8 v[112:115], a[146:147], v[30:31], v[112:115]// 000000007F54: D3F30070 0DC23D92
	s_waitcnt lgkmcnt(4)                                       // 000000007F5C: BF8CC47F
	v_mfma_f32_16x16x32_fp8_fp8 v[108:111], a[132:133], v[32:33], v[108:111]// 000000007F60: D3F3006C 0DB24184
	v_mfma_f32_16x16x32_fp8_fp8 v[112:115], a[148:149], v[32:33], v[112:115]// 000000007F68: D3F30070 0DC24194
	v_mfma_f32_16x16x32_fp8_fp8 v[108:111], a[134:135], v[34:35], v[108:111]// 000000007F70: D3F3006C 0DB24586
	buffer_load_dwordx4 a[116:119], v234, s[16:19], 0 offen offset:1024// 000000007F78: E05C1400 808474EA
	v_mfma_f32_16x16x32_fp8_fp8 v[112:115], a[150:151], v[34:35], v[112:115]// 000000007F80: D3F30070 0DC24596
	s_waitcnt lgkmcnt(3)                                       // 000000007F88: BF8CC37F
	v_mfma_f32_16x16x32_fp8_fp8 v[116:119], a[120:121], v[36:37], 0// 000000007F8C: D3F30074 0A024978
	v_mfma_f32_16x16x32_fp8_fp8 v[120:123], a[136:137], v[36:37], 0// 000000007F94: D3F30078 0A024988
	v_mfma_f32_16x16x32_fp8_fp8 v[116:119], a[122:123], v[38:39], v[116:119]// 000000007F9C: D3F30074 0DD24D7A
	v_mfma_f32_16x16x32_fp8_fp8 v[120:123], a[138:139], v[38:39], v[120:123]// 000000007FA4: D3F30078 0DE24D8A
	s_waitcnt lgkmcnt(2)                                       // 000000007FAC: BF8CC27F
	v_mfma_f32_16x16x32_fp8_fp8 v[116:119], a[124:125], v[40:41], v[116:119]// 000000007FB0: D3F30074 0DD2517C
	v_mfma_f32_16x16x32_fp8_fp8 v[120:123], a[140:141], v[40:41], v[120:123]// 000000007FB8: D3F30078 0DE2518C
	v_mfma_f32_16x16x32_fp8_fp8 v[116:119], a[126:127], v[42:43], v[116:119]// 000000007FC0: D3F30074 0DD2557E
	v_mfma_f32_16x16x32_fp8_fp8 v[120:123], a[142:143], v[42:43], v[120:123]// 000000007FC8: D3F30078 0DE2558E
	s_waitcnt lgkmcnt(1)                                       // 000000007FD0: BF8CC17F
	v_mfma_f32_16x16x32_fp8_fp8 v[116:119], a[128:129], v[44:45], v[116:119]// 000000007FD4: D3F30074 0DD25980
	v_mfma_f32_16x16x32_fp8_fp8 v[120:123], a[144:145], v[44:45], v[120:123]// 000000007FDC: D3F30078 0DE25990
	v_mfma_f32_16x16x32_fp8_fp8 v[116:119], a[130:131], v[46:47], v[116:119]// 000000007FE4: D3F30074 0DD25D82
	v_mfma_f32_16x16x32_fp8_fp8 v[120:123], a[146:147], v[46:47], v[120:123]// 000000007FEC: D3F30078 0DE25D92
	s_waitcnt lgkmcnt(0)                                       // 000000007FF4: BF8CC07F
	v_mfma_f32_16x16x32_fp8_fp8 v[116:119], a[132:133], v[48:49], v[116:119]// 000000007FF8: D3F30074 0DD26184
	v_mfma_f32_16x16x32_fp8_fp8 v[120:123], a[148:149], v[48:49], v[120:123]// 000000008000: D3F30078 0DE26194
	v_mfma_f32_16x16x32_fp8_fp8 v[116:119], a[134:135], v[50:51], v[116:119]// 000000008008: D3F30074 0DD26586
	v_mfma_f32_16x16x32_fp8_fp8 v[120:123], a[150:151], v[50:51], v[120:123]// 000000008010: D3F30078 0DE26596
	s_addk_i32 s64, 0x100                                      // 000000008018: B7400100
	s_branch label_041C                                        // 00000000801C: BF82EE14

0000000000008020 <label_1608>:
	s_cmp_lt_i32 s64, s63                                      // 000000008020: BF043F40
	s_cbranch_scc0 label_27F4                                  // 000000008024: BF8411EA
	s_waitcnt vmcnt(10)                                        // 000000008028: BF8C0F7A
	v_mfma_f32_16x16x32_fp8_fp8 v[4:7], a[24:25], a[0:1], 0    // 00000000802C: D3F30004 1A020118
	s_add_u32 s12, s86, s69                                    // 000000008034: 800C4556
	s_addc_u32 s13, s87, 0                                     // 000000008038: 820D8057
	v_mfma_f32_16x16x32_fp8_fp8 v[4:7], a[26:27], a[2:3], v[4:7]// 00000000803C: D3F30004 1C12051A
	s_add_u32 s16, s88, s70                                    // 000000008044: 80104658
	s_addc_u32 s17, s89, 0                                     // 000000008048: 82118059
	v_mfma_f32_16x16x32_fp8_fp8 v[4:7], a[28:29], a[4:5], v[4:7]// 00000000804C: D3F30004 1C12091C
	buffer_load_dwordx4 a[56:59], v229, s[12:15], 0 offen      // 000000008054: E05C1000 808338E5
	v_mfma_f32_16x16x32_fp8_fp8 v[4:7], a[30:31], a[6:7], v[4:7]// 00000000805C: D3F30004 1C120D1E
	s_add_u32 s20, s90, s71                                    // 000000008064: 8014475A
	s_addc_u32 s21, s91, 0                                     // 000000008068: 8215805B
	v_mfma_f32_16x16x32_fp8_fp8 v[8:11], a[32:33], a[0:1], 0   // 00000000806C: D3F30008 1A020120
	s_add_u32 s24, s92, s71                                    // 000000008074: 8018475C
	s_addc_u32 s25, s93, 0                                     // 000000008078: 8219805D
	v_mfma_f32_16x16x32_fp8_fp8 v[8:11], a[34:35], a[2:3], v[8:11]// 00000000807C: D3F30008 1C220522
	s_add_u32 s69, s69, 0x1000                                 // 000000008084: 8045FF45 00001000
	s_add_u32 s70, s70, 0x8000                                 // 00000000808C: 8046FF46 00008000
	v_mfma_f32_16x16x32_fp8_fp8 v[8:11], a[36:37], a[4:5], v[8:11]// 000000008094: D3F30008 1C220924
	buffer_load_dwordx4 a[60:63], v230, s[12:15], 0 offen      // 00000000809C: E05C1000 80833CE6
	v_mfma_f32_16x16x32_fp8_fp8 v[8:11], a[38:39], a[6:7], v[8:11]// 0000000080A4: D3F30008 1C220D26
	s_add_u32 s71, s71, 0x400                                  // 0000000080AC: 8047FF47 00000400
	v_mfma_f32_16x16x32_fp8_fp8 v[12:15], a[40:41], a[0:1], 0  // 0000000080B4: D3F3000C 1A020128
	v_mfma_f32_16x16x32_fp8_fp8 v[12:15], a[42:43], a[2:3], v[12:15]// 0000000080BC: D3F3000C 1C32052A
	v_mfma_f32_16x16x32_fp8_fp8 v[12:15], a[44:45], a[4:5], v[12:15]// 0000000080C4: D3F3000C 1C32092C
	buffer_load_dwordx4 a[64:67], v229, s[12:15], 0 offen offset:1024// 0000000080CC: E05C1400 808340E5
	v_mfma_f32_16x16x32_fp8_fp8 v[12:15], a[46:47], a[6:7], v[12:15]// 0000000080D4: D3F3000C 1C320D2E
	v_mfma_f32_16x16x32_fp8_fp8 v[16:19], a[48:49], a[0:1], 0  // 0000000080DC: D3F30010 1A020130
	v_mfma_f32_16x16x32_fp8_fp8 v[16:19], a[50:51], a[2:3], v[16:19]// 0000000080E4: D3F30010 1C420532
	v_mfma_f32_16x16x32_fp8_fp8 v[16:19], a[52:53], a[4:5], v[16:19]// 0000000080EC: D3F30010 1C420934
	buffer_load_dwordx4 a[68:71], v230, s[12:15], 0 offen offset:1024// 0000000080F4: E05C1400 808344E6
	v_mfma_f32_16x16x32_fp8_fp8 v[16:19], a[54:55], a[6:7], v[16:19]// 0000000080FC: D3F30010 1C420D36
	v_mfma_f32_16x16x32_fp8_fp8 v[20:23], a[24:25], a[8:9], 0  // 000000008104: D3F30014 1A021118
	v_mfma_f32_16x16x32_fp8_fp8 v[20:23], a[26:27], a[10:11], v[20:23]// 00000000810C: D3F30014 1C52151A
	v_mfma_f32_16x16x32_fp8_fp8 v[20:23], a[28:29], a[12:13], v[20:23]// 000000008114: D3F30014 1C52191C
	buffer_load_dwordx4 a[72:75], v229, s[12:15], 0 offen offset:2048// 00000000811C: E05C1800 808348E5
	v_mfma_f32_16x16x32_fp8_fp8 v[20:23], a[30:31], a[14:15], v[20:23]// 000000008124: D3F30014 1C521D1E
	v_mfma_f32_16x16x32_fp8_fp8 v[24:27], a[32:33], a[8:9], 0  // 00000000812C: D3F30018 1A021120
	v_mfma_f32_16x16x32_fp8_fp8 v[24:27], a[34:35], a[10:11], v[24:27]// 000000008134: D3F30018 1C621522
	v_mfma_f32_16x16x32_fp8_fp8 v[24:27], a[36:37], a[12:13], v[24:27]// 00000000813C: D3F30018 1C621924
	buffer_load_dwordx4 a[76:79], v230, s[12:15], 0 offen offset:2048// 000000008144: E05C1800 80834CE6
	v_mfma_f32_16x16x32_fp8_fp8 v[24:27], a[38:39], a[14:15], v[24:27]// 00000000814C: D3F30018 1C621D26
	v_mfma_f32_16x16x32_fp8_fp8 v[28:31], a[40:41], a[8:9], 0  // 000000008154: D3F3001C 1A021128
	v_mfma_f32_16x16x32_fp8_fp8 v[28:31], a[42:43], a[10:11], v[28:31]// 00000000815C: D3F3001C 1C72152A
	v_mfma_f32_16x16x32_fp8_fp8 v[28:31], a[44:45], a[12:13], v[28:31]// 000000008164: D3F3001C 1C72192C
	buffer_load_dwordx4 a[80:83], v229, s[12:15], 0 offen offset:3072// 00000000816C: E05C1C00 808350E5
	v_mfma_f32_16x16x32_fp8_fp8 v[28:31], a[46:47], a[14:15], v[28:31]// 000000008174: D3F3001C 1C721D2E
	v_mfma_f32_16x16x32_fp8_fp8 v[32:35], a[48:49], a[8:9], 0  // 00000000817C: D3F30020 1A021130
	v_mfma_f32_16x16x32_fp8_fp8 v[32:35], a[50:51], a[10:11], v[32:35]// 000000008184: D3F30020 1C821532
	v_mfma_f32_16x16x32_fp8_fp8 v[32:35], a[52:53], a[12:13], v[32:35]// 00000000818C: D3F30020 1C821934
	buffer_load_dwordx4 a[84:87], v230, s[12:15], 0 offen offset:3072// 000000008194: E05C1C00 808354E6
	v_mfma_f32_16x16x32_fp8_fp8 v[32:35], a[54:55], a[14:15], v[32:35]// 00000000819C: D3F30020 1C821D36
	v_mfma_f32_16x16x32_fp8_fp8 v[36:39], a[24:25], a[16:17], 0// 0000000081A4: D3F30024 1A022118
	v_mfma_f32_16x16x32_fp8_fp8 v[36:39], a[26:27], a[18:19], v[36:39]// 0000000081AC: D3F30024 1C92251A
	v_mfma_f32_16x16x32_fp8_fp8 v[36:39], a[28:29], a[20:21], v[36:39]// 0000000081B4: D3F30024 1C92291C
	v_mfma_f32_16x16x32_fp8_fp8 v[36:39], a[30:31], a[22:23], v[36:39]// 0000000081BC: D3F30024 1C922D1E
	v_mfma_f32_16x16x32_fp8_fp8 v[40:43], a[32:33], a[16:17], 0// 0000000081C4: D3F30028 1A022120
	v_mfma_f32_16x16x32_fp8_fp8 v[40:43], a[34:35], a[18:19], v[40:43]// 0000000081CC: D3F30028 1CA22522
	v_mfma_f32_16x16x32_fp8_fp8 v[40:43], a[36:37], a[20:21], v[40:43]// 0000000081D4: D3F30028 1CA22924
	v_mfma_f32_16x16x32_fp8_fp8 v[40:43], a[38:39], a[22:23], v[40:43]// 0000000081DC: D3F30028 1CA22D26
	v_mfma_f32_16x16x32_fp8_fp8 v[44:47], a[40:41], a[16:17], 0// 0000000081E4: D3F3002C 1A022128
	v_mfma_f32_16x16x32_fp8_fp8 v[44:47], a[42:43], a[18:19], v[44:47]// 0000000081EC: D3F3002C 1CB2252A
	v_mfma_f32_16x16x32_fp8_fp8 v[44:47], a[44:45], a[20:21], v[44:47]// 0000000081F4: D3F3002C 1CB2292C
	v_mfma_f32_16x16x32_fp8_fp8 v[44:47], a[46:47], a[22:23], v[44:47]// 0000000081FC: D3F3002C 1CB22D2E
	v_mfma_f32_16x16x32_fp8_fp8 v[48:51], a[48:49], a[16:17], 0// 000000008204: D3F30030 1A022130
	v_mfma_f32_16x16x32_fp8_fp8 v[48:51], a[50:51], a[18:19], v[48:51]// 00000000820C: D3F30030 1CC22532
	v_mfma_f32_16x16x32_fp8_fp8 v[48:51], a[52:53], a[20:21], v[48:51]// 000000008214: D3F30030 1CC22934
	v_mfma_f32_16x16x32_fp8_fp8 v[48:51], a[54:55], a[22:23], v[48:51]// 00000000821C: D3F30030 1CC22D36
	s_waitcnt vmcnt(16)                                        // 000000008224: BF8C4F70
	v_pk_mul_f32 v[4:5], v[148:149], v[4:5]                    // 000000008228: D3B14004 18020994
	v_pk_mul_f32 v[6:7], v[148:149], v[6:7]                    // 000000008230: D3B14006 18020D94
	v_mul_f32_dpp v4, v154, v4 row_newbcast:0 row_mask:0xf bank_mask:0xf// 000000008238: 0A0808FA FF01509A
	v_mul_f32_dpp v5, v154, v5 row_newbcast:1 row_mask:0xf bank_mask:0xf// 000000008240: 0A0A0AFA FF01519A
	v_mul_f32_dpp v6, v154, v6 row_newbcast:2 row_mask:0xf bank_mask:0xf// 000000008248: 0A0C0CFA FF01529A
	v_mul_f32_dpp v7, v154, v7 row_newbcast:3 row_mask:0xf bank_mask:0xf// 000000008250: 0A0E0EFA FF01539A
	v_pk_mul_f32 v[8:9], v[148:149], v[8:9]                    // 000000008258: D3B14008 18021194
	v_pk_mul_f32 v[10:11], v[148:149], v[10:11]                // 000000008260: D3B1400A 18021594
	v_mul_f32_dpp v8, v154, v8 row_newbcast:4 row_mask:0xf bank_mask:0xf// 000000008268: 0A1010FA FF01549A
	v_mul_f32_dpp v9, v154, v9 row_newbcast:5 row_mask:0xf bank_mask:0xf// 000000008270: 0A1212FA FF01559A
	v_mul_f32_dpp v10, v154, v10 row_newbcast:6 row_mask:0xf bank_mask:0xf// 000000008278: 0A1414FA FF01569A
	v_mul_f32_dpp v11, v154, v11 row_newbcast:7 row_mask:0xf bank_mask:0xf// 000000008280: 0A1616FA FF01579A
	v_pk_mul_f32 v[12:13], v[148:149], v[12:13]                // 000000008288: D3B1400C 18021994
	v_pk_mul_f32 v[14:15], v[148:149], v[14:15]                // 000000008290: D3B1400E 18021D94
	v_mul_f32_dpp v12, v154, v12 row_newbcast:8 row_mask:0xf bank_mask:0xf// 000000008298: 0A1818FA FF01589A
	v_mul_f32_dpp v13, v154, v13 row_newbcast:9 row_mask:0xf bank_mask:0xf// 0000000082A0: 0A1A1AFA FF01599A
	v_mul_f32_dpp v14, v154, v14 row_newbcast:10 row_mask:0xf bank_mask:0xf// 0000000082A8: 0A1C1CFA FF015A9A
	v_mul_f32_dpp v15, v154, v15 row_newbcast:11 row_mask:0xf bank_mask:0xf// 0000000082B0: 0A1E1EFA FF015B9A
	v_pk_mul_f32 v[16:17], v[148:149], v[16:17]                // 0000000082B8: D3B14010 18022194
	v_pk_mul_f32 v[18:19], v[148:149], v[18:19]                // 0000000082C0: D3B14012 18022594
	v_mul_f32_dpp v16, v154, v16 row_newbcast:12 row_mask:0xf bank_mask:0xf// 0000000082C8: 0A2020FA FF015C9A
	v_mul_f32_dpp v17, v154, v17 row_newbcast:13 row_mask:0xf bank_mask:0xf// 0000000082D0: 0A2222FA FF015D9A
	v_mul_f32_dpp v18, v154, v18 row_newbcast:14 row_mask:0xf bank_mask:0xf// 0000000082D8: 0A2424FA FF015E9A
	v_mul_f32_dpp v19, v154, v19 row_newbcast:15 row_mask:0xf bank_mask:0xf// 0000000082E0: 0A2626FA FF015F9A
	v_pk_mul_f32 v[20:21], v[150:151], v[20:21]                // 0000000082E8: D3B14014 18022996
	v_pk_mul_f32 v[22:23], v[150:151], v[22:23]                // 0000000082F0: D3B14016 18022D96
	v_mul_f32_dpp v20, v154, v20 row_newbcast:0 row_mask:0xf bank_mask:0xf// 0000000082F8: 0A2828FA FF01509A
	v_mul_f32_dpp v21, v154, v21 row_newbcast:1 row_mask:0xf bank_mask:0xf// 000000008300: 0A2A2AFA FF01519A
	v_mul_f32_dpp v22, v154, v22 row_newbcast:2 row_mask:0xf bank_mask:0xf// 000000008308: 0A2C2CFA FF01529A
	v_mul_f32_dpp v23, v154, v23 row_newbcast:3 row_mask:0xf bank_mask:0xf// 000000008310: 0A2E2EFA FF01539A
	v_pk_mul_f32 v[24:25], v[150:151], v[24:25]                // 000000008318: D3B14018 18023196
	v_pk_mul_f32 v[26:27], v[150:151], v[26:27]                // 000000008320: D3B1401A 18023596
	v_mul_f32_dpp v24, v154, v24 row_newbcast:4 row_mask:0xf bank_mask:0xf// 000000008328: 0A3030FA FF01549A
	v_mul_f32_dpp v25, v154, v25 row_newbcast:5 row_mask:0xf bank_mask:0xf// 000000008330: 0A3232FA FF01559A
	v_mul_f32_dpp v26, v154, v26 row_newbcast:6 row_mask:0xf bank_mask:0xf// 000000008338: 0A3434FA FF01569A
	v_mul_f32_dpp v27, v154, v27 row_newbcast:7 row_mask:0xf bank_mask:0xf// 000000008340: 0A3636FA FF01579A
	v_pk_mul_f32 v[28:29], v[150:151], v[28:29]                // 000000008348: D3B1401C 18023996
	v_pk_mul_f32 v[30:31], v[150:151], v[30:31]                // 000000008350: D3B1401E 18023D96
	v_mul_f32_dpp v28, v154, v28 row_newbcast:8 row_mask:0xf bank_mask:0xf// 000000008358: 0A3838FA FF01589A
	v_mul_f32_dpp v29, v154, v29 row_newbcast:9 row_mask:0xf bank_mask:0xf// 000000008360: 0A3A3AFA FF01599A
	v_mul_f32_dpp v30, v154, v30 row_newbcast:10 row_mask:0xf bank_mask:0xf// 000000008368: 0A3C3CFA FF015A9A
	v_mul_f32_dpp v31, v154, v31 row_newbcast:11 row_mask:0xf bank_mask:0xf// 000000008370: 0A3E3EFA FF015B9A
	v_pk_mul_f32 v[32:33], v[150:151], v[32:33]                // 000000008378: D3B14020 18024196
	v_pk_mul_f32 v[34:35], v[150:151], v[34:35]                // 000000008380: D3B14022 18024596
	v_mul_f32_dpp v32, v154, v32 row_newbcast:12 row_mask:0xf bank_mask:0xf// 000000008388: 0A4040FA FF015C9A
	v_mul_f32_dpp v33, v154, v33 row_newbcast:13 row_mask:0xf bank_mask:0xf// 000000008390: 0A4242FA FF015D9A
	v_mul_f32_dpp v34, v154, v34 row_newbcast:14 row_mask:0xf bank_mask:0xf// 000000008398: 0A4444FA FF015E9A
	v_mul_f32_dpp v35, v154, v35 row_newbcast:15 row_mask:0xf bank_mask:0xf// 0000000083A0: 0A4646FA FF015F9A
	v_pk_mul_f32 v[36:37], v[152:153], v[36:37]                // 0000000083A8: D3B14024 18024998
	v_pk_mul_f32 v[38:39], v[152:153], v[38:39]                // 0000000083B0: D3B14026 18024D98
	v_mul_f32_dpp v36, v154, v36 row_newbcast:0 row_mask:0xf bank_mask:0xf// 0000000083B8: 0A4848FA FF01509A
	v_mul_f32_dpp v37, v154, v37 row_newbcast:1 row_mask:0xf bank_mask:0xf// 0000000083C0: 0A4A4AFA FF01519A
	v_mul_f32_dpp v38, v154, v38 row_newbcast:2 row_mask:0xf bank_mask:0xf// 0000000083C8: 0A4C4CFA FF01529A
	v_mul_f32_dpp v39, v154, v39 row_newbcast:3 row_mask:0xf bank_mask:0xf// 0000000083D0: 0A4E4EFA FF01539A
	v_pk_mul_f32 v[40:41], v[152:153], v[40:41]                // 0000000083D8: D3B14028 18025198
	v_pk_mul_f32 v[42:43], v[152:153], v[42:43]                // 0000000083E0: D3B1402A 18025598
	v_mul_f32_dpp v40, v154, v40 row_newbcast:4 row_mask:0xf bank_mask:0xf// 0000000083E8: 0A5050FA FF01549A
	v_mul_f32_dpp v41, v154, v41 row_newbcast:5 row_mask:0xf bank_mask:0xf// 0000000083F0: 0A5252FA FF01559A
	v_mul_f32_dpp v42, v154, v42 row_newbcast:6 row_mask:0xf bank_mask:0xf// 0000000083F8: 0A5454FA FF01569A
	v_mul_f32_dpp v43, v154, v43 row_newbcast:7 row_mask:0xf bank_mask:0xf// 000000008400: 0A5656FA FF01579A
	v_pk_mul_f32 v[44:45], v[152:153], v[44:45]                // 000000008408: D3B1402C 18025998
	v_pk_mul_f32 v[46:47], v[152:153], v[46:47]                // 000000008410: D3B1402E 18025D98
	v_mul_f32_dpp v44, v154, v44 row_newbcast:8 row_mask:0xf bank_mask:0xf// 000000008418: 0A5858FA FF01589A
	v_mul_f32_dpp v45, v154, v45 row_newbcast:9 row_mask:0xf bank_mask:0xf// 000000008420: 0A5A5AFA FF01599A
	v_mul_f32_dpp v46, v154, v46 row_newbcast:10 row_mask:0xf bank_mask:0xf// 000000008428: 0A5C5CFA FF015A9A
	v_mul_f32_dpp v47, v154, v47 row_newbcast:11 row_mask:0xf bank_mask:0xf// 000000008430: 0A5E5EFA FF015B9A
	v_pk_mul_f32 v[48:49], v[152:153], v[48:49]                // 000000008438: D3B14030 18026198
	v_pk_mul_f32 v[50:51], v[152:153], v[50:51]                // 000000008440: D3B14032 18026598
	v_mul_f32_dpp v48, v154, v48 row_newbcast:12 row_mask:0xf bank_mask:0xf// 000000008448: 0A6060FA FF015C9A
	v_mul_f32_dpp v49, v154, v49 row_newbcast:13 row_mask:0xf bank_mask:0xf// 000000008450: 0A6262FA FF015D9A
	v_mul_f32_dpp v50, v154, v50 row_newbcast:14 row_mask:0xf bank_mask:0xf// 000000008458: 0A6464FA FF015E9A
	v_mul_f32_dpp v51, v154, v51 row_newbcast:15 row_mask:0xf bank_mask:0xf// 000000008460: 0A6666FA FF015F9A
	v_mov_b32_e32 v182, v4                                     // 000000008468: 7F6C0304
	v_max3_f32 v182, v4, v5, v182                              // 00000000846C: D1D300B6 06DA0B04
	v_max3_f32 v182, v6, v7, v182                              // 000000008474: D1D300B6 06DA0F06
	v_max3_f32 v182, v8, v9, v182                              // 00000000847C: D1D300B6 06DA1308
	v_max3_f32 v182, v10, v11, v182                            // 000000008484: D1D300B6 06DA170A
	v_max3_f32 v182, v12, v13, v182                            // 00000000848C: D1D300B6 06DA1B0C
	v_max3_f32 v182, v14, v15, v182                            // 000000008494: D1D300B6 06DA1F0E
	v_max3_f32 v182, v16, v17, v182                            // 00000000849C: D1D300B6 06DA2310
	v_max3_f32 v182, v18, v19, v182                            // 0000000084A4: D1D300B6 06DA2712
	v_mov_b32_e32 v183, v20                                    // 0000000084AC: 7F6E0314
	v_max3_f32 v183, v20, v21, v183                            // 0000000084B0: D1D300B7 06DE2B14
	v_max3_f32 v183, v22, v23, v183                            // 0000000084B8: D1D300B7 06DE2F16
	v_max3_f32 v183, v24, v25, v183                            // 0000000084C0: D1D300B7 06DE3318
	v_max3_f32 v183, v26, v27, v183                            // 0000000084C8: D1D300B7 06DE371A
	v_max3_f32 v183, v28, v29, v183                            // 0000000084D0: D1D300B7 06DE3B1C
	v_max3_f32 v183, v30, v31, v183                            // 0000000084D8: D1D300B7 06DE3F1E
	v_max3_f32 v183, v32, v33, v183                            // 0000000084E0: D1D300B7 06DE4320
	v_max3_f32 v183, v34, v35, v183                            // 0000000084E8: D1D300B7 06DE4722
	v_mov_b32_e32 v184, v36                                    // 0000000084F0: 7F700324
	v_max3_f32 v184, v36, v37, v184                            // 0000000084F4: D1D300B8 06E24B24
	v_max3_f32 v184, v38, v39, v184                            // 0000000084FC: D1D300B8 06E24F26
	v_max3_f32 v184, v40, v41, v184                            // 000000008504: D1D300B8 06E25328
	v_max3_f32 v184, v42, v43, v184                            // 00000000850C: D1D300B8 06E2572A
	v_max3_f32 v184, v44, v45, v184                            // 000000008514: D1D300B8 06E25B2C
	v_max3_f32 v184, v46, v47, v184                            // 00000000851C: D1D300B8 06E25F2E
	v_max3_f32 v184, v48, v49, v184                            // 000000008524: D1D300B8 06E26330
	v_max3_f32 v184, v50, v51, v184                            // 00000000852C: D1D300B8 06E26732
	v_pk_mul_f32 v[124:125], v[170:171], v[124:125]            // 000000008534: D3B1407C 1802F9AA
	v_pk_mul_f32 v[126:127], v[170:171], v[126:127]            // 00000000853C: D3B1407E 1802FDAA
	v_pk_mul_f32 v[128:129], v[170:171], v[128:129]            // 000000008544: D3B14080 180301AA
	v_pk_mul_f32 v[130:131], v[170:171], v[130:131]            // 00000000854C: D3B14082 180305AA
	v_pk_mul_f32 v[132:133], v[172:173], v[132:133]            // 000000008554: D3B14084 180309AC
	v_pk_mul_f32 v[134:135], v[172:173], v[134:135]            // 00000000855C: D3B14086 18030DAC
	v_pk_mul_f32 v[136:137], v[172:173], v[136:137]            // 000000008564: D3B14088 180311AC
	v_pk_mul_f32 v[138:139], v[172:173], v[138:139]            // 00000000856C: D3B1408A 180315AC
	v_pk_mul_f32 v[140:141], v[174:175], v[140:141]            // 000000008574: D3B1408C 180319AE
	v_pk_mul_f32 v[142:143], v[174:175], v[142:143]            // 00000000857C: D3B1408E 18031DAE
	v_pk_mul_f32 v[144:145], v[174:175], v[144:145]            // 000000008584: D3B14090 180321AE
	v_pk_mul_f32 v[146:147], v[174:175], v[146:147]            // 00000000858C: D3B14092 180325AE
	ds_bpermute_b32 v188, v208, v182                           // 000000008594: D87E0000 BC00B6D0
	ds_bpermute_b32 v189, v209, v182                           // 00000000859C: D87E0000 BD00B6D1
	ds_bpermute_b32 v190, v210, v182                           // 0000000085A4: D87E0000 BE00B6D2
	ds_bpermute_b32 v191, v208, v183                           // 0000000085AC: D87E0000 BF00B7D0
	ds_bpermute_b32 v192, v209, v183                           // 0000000085B4: D87E0000 C000B7D1
	ds_bpermute_b32 v193, v210, v183                           // 0000000085BC: D87E0000 C100B7D2
	ds_bpermute_b32 v194, v208, v184                           // 0000000085C4: D87E0000 C200B8D0
	ds_bpermute_b32 v195, v209, v184                           // 0000000085CC: D87E0000 C300B8D1
	ds_bpermute_b32 v196, v210, v184                           // 0000000085D4: D87E0000 C400B8D2
	s_waitcnt lgkmcnt(6)                                       // 0000000085DC: BF8CC67F
	v_max3_f32 v182, v188, v189, v182                          // 0000000085E0: D1D300B6 06DB7BBC
	v_max_f32_e32 v182, v190, v182                             // 0000000085E8: 176D6DBE
	s_waitcnt lgkmcnt(3)                                       // 0000000085EC: BF8CC37F
	v_max3_f32 v183, v191, v192, v183                          // 0000000085F0: D1D300B7 06DF81BF
	v_max_f32_e32 v183, v193, v183                             // 0000000085F8: 176F6FC1
	s_waitcnt lgkmcnt(0)                                       // 0000000085FC: BF8CC07F
	v_max3_f32 v184, v194, v195, v184                          // 000000008600: D1D300B8 06E387C2
	v_max_f32_e32 v184, v196, v184                             // 000000008608: 177171C4
	ds_write_b128 v249, v[182:185]                             // 00000000860C: D9BE0000 0000B6F9
	s_waitcnt lgkmcnt(0)                                       // 000000008614: BF8CC07F
	s_barrier                                                  // 000000008618: BF8A0000
	v_pk_mul_f32 v[100:101], v[158:159], v[100:101]            // 00000000861C: D3B14064 1802C99E
	v_pk_mul_f32 v[102:103], v[158:159], v[102:103]            // 000000008624: D3B14066 1802CD9E
	v_pk_mul_f32 v[104:105], v[158:159], v[104:105]            // 00000000862C: D3B14068 1802D19E
	v_pk_mul_f32 v[106:107], v[158:159], v[106:107]            // 000000008634: D3B1406A 1802D59E
	v_pk_mul_f32 v[108:109], v[160:161], v[108:109]            // 00000000863C: D3B1406C 1802D9A0
	v_pk_mul_f32 v[110:111], v[160:161], v[110:111]            // 000000008644: D3B1406E 1802DDA0
	v_pk_mul_f32 v[112:113], v[160:161], v[112:113]            // 00000000864C: D3B14070 1802E1A0
	v_pk_mul_f32 v[114:115], v[160:161], v[114:115]            // 000000008654: D3B14072 1802E5A0
	v_pk_mul_f32 v[116:117], v[162:163], v[116:117]            // 00000000865C: D3B14074 1802E9A2
	v_pk_mul_f32 v[118:119], v[162:163], v[118:119]            // 000000008664: D3B14076 1802EDA2
	v_pk_mul_f32 v[120:121], v[162:163], v[120:121]            // 00000000866C: D3B14078 1802F1A2
	v_pk_mul_f32 v[122:123], v[162:163], v[122:123]            // 000000008674: D3B1407A 1802F5A2
	ds_read_b128 v[188:191], v250                              // 00000000867C: D9FE0000 BC0000FA
	ds_read_b128 v[192:195], v250 offset:256                   // 000000008684: D9FE0100 C00000FA
	ds_read_b128 v[196:199], v250 offset:512                   // 00000000868C: D9FE0200 C40000FA
	ds_read_b128 v[200:203], v250 offset:768                   // 000000008694: D9FE0300 C80000FA
	s_waitcnt lgkmcnt(0)                                       // 00000000869C: BF8CC07F
	v_max3_f32 v182, v188, v192, v182                          // 0000000086A0: D1D300B6 06DB81BC
	v_max3_f32 v183, v189, v193, v183                          // 0000000086A8: D1D300B7 06DF83BD
	v_max3_f32 v184, v190, v194, v184                          // 0000000086B0: D1D300B8 06E385BE
	v_max3_f32 v182, v196, v200, v182                          // 0000000086B8: D1D300B6 06DB91C4
	v_max3_f32 v183, v197, v201, v183                          // 0000000086C0: D1D300B7 06DF93C5
	v_max3_f32 v184, v198, v202, v184                          // 0000000086C8: D1D300B8 06E395C6
	v_max_f32_e32 v167, v182, v164                             // 0000000086D0: 174F49B6
	v_mul_f32_e64 v204, -s46, v167                             // 0000000086D4: D10500CC 20034E2E
	v_mov_b32_e32 v205, v204                                   // 0000000086DC: 7F9A03CC
	v_pk_fma_f32 v[4:5], v[4:5], s[46:47], v[204:205]          // 0000000086E0: D3B04004 1F305D04
	v_pk_fma_f32 v[6:7], v[6:7], s[46:47], v[204:205]          // 0000000086E8: D3B04006 1F305D06
	v_exp_f32_e32 v4, v4                                       // 0000000086F0: 7E084104
	v_exp_f32_e32 v5, v5                                       // 0000000086F4: 7E0A4105
	v_exp_f32_e32 v6, v6                                       // 0000000086F8: 7E0C4106
	v_exp_f32_e32 v7, v7                                       // 0000000086FC: 7E0E4107
	v_pk_fma_f32 v[8:9], v[8:9], s[46:47], v[204:205]          // 000000008700: D3B04008 1F305D08
	v_pk_fma_f32 v[10:11], v[10:11], s[46:47], v[204:205]      // 000000008708: D3B0400A 1F305D0A
	v_exp_f32_e32 v8, v8                                       // 000000008710: 7E104108
	v_exp_f32_e32 v9, v9                                       // 000000008714: 7E124109
	v_exp_f32_e32 v10, v10                                     // 000000008718: 7E14410A
	v_exp_f32_e32 v11, v11                                     // 00000000871C: 7E16410B
	v_pk_fma_f32 v[12:13], v[12:13], s[46:47], v[204:205]      // 000000008720: D3B0400C 1F305D0C
	v_pk_fma_f32 v[14:15], v[14:15], s[46:47], v[204:205]      // 000000008728: D3B0400E 1F305D0E
	v_exp_f32_e32 v12, v12                                     // 000000008730: 7E18410C
	v_exp_f32_e32 v13, v13                                     // 000000008734: 7E1A410D
	v_exp_f32_e32 v14, v14                                     // 000000008738: 7E1C410E
	v_exp_f32_e32 v15, v15                                     // 00000000873C: 7E1E410F
	v_pk_fma_f32 v[16:17], v[16:17], s[46:47], v[204:205]      // 000000008740: D3B04010 1F305D10
	v_pk_fma_f32 v[18:19], v[18:19], s[46:47], v[204:205]      // 000000008748: D3B04012 1F305D12
	v_exp_f32_e32 v16, v16                                     // 000000008750: 7E204110
	v_exp_f32_e32 v17, v17                                     // 000000008754: 7E224111
	v_exp_f32_e32 v18, v18                                     // 000000008758: 7E244112
	v_exp_f32_e32 v19, v19                                     // 00000000875C: 7E264113
	v_max_f32_e32 v168, v183, v165                             // 000000008760: 17514BB7
	v_mul_f32_e64 v204, -s46, v168                             // 000000008764: D10500CC 2003502E
	v_mov_b32_e32 v205, v204                                   // 00000000876C: 7F9A03CC
	v_pk_fma_f32 v[20:21], v[20:21], s[46:47], v[204:205]      // 000000008770: D3B04014 1F305D14
	v_pk_fma_f32 v[22:23], v[22:23], s[46:47], v[204:205]      // 000000008778: D3B04016 1F305D16
	v_exp_f32_e32 v20, v20                                     // 000000008780: 7E284114
	v_exp_f32_e32 v21, v21                                     // 000000008784: 7E2A4115
	v_exp_f32_e32 v22, v22                                     // 000000008788: 7E2C4116
	v_exp_f32_e32 v23, v23                                     // 00000000878C: 7E2E4117
	v_pk_fma_f32 v[24:25], v[24:25], s[46:47], v[204:205]      // 000000008790: D3B04018 1F305D18
	v_pk_fma_f32 v[26:27], v[26:27], s[46:47], v[204:205]      // 000000008798: D3B0401A 1F305D1A
	v_exp_f32_e32 v24, v24                                     // 0000000087A0: 7E304118
	v_exp_f32_e32 v25, v25                                     // 0000000087A4: 7E324119
	v_exp_f32_e32 v26, v26                                     // 0000000087A8: 7E34411A
	v_exp_f32_e32 v27, v27                                     // 0000000087AC: 7E36411B
	v_pk_fma_f32 v[28:29], v[28:29], s[46:47], v[204:205]      // 0000000087B0: D3B0401C 1F305D1C
	v_pk_fma_f32 v[30:31], v[30:31], s[46:47], v[204:205]      // 0000000087B8: D3B0401E 1F305D1E
	v_exp_f32_e32 v28, v28                                     // 0000000087C0: 7E38411C
	v_exp_f32_e32 v29, v29                                     // 0000000087C4: 7E3A411D
	v_exp_f32_e32 v30, v30                                     // 0000000087C8: 7E3C411E
	v_exp_f32_e32 v31, v31                                     // 0000000087CC: 7E3E411F
	v_pk_fma_f32 v[32:33], v[32:33], s[46:47], v[204:205]      // 0000000087D0: D3B04020 1F305D20
	v_pk_fma_f32 v[34:35], v[34:35], s[46:47], v[204:205]      // 0000000087D8: D3B04022 1F305D22
	v_exp_f32_e32 v32, v32                                     // 0000000087E0: 7E404120
	v_exp_f32_e32 v33, v33                                     // 0000000087E4: 7E424121
	v_exp_f32_e32 v34, v34                                     // 0000000087E8: 7E444122
	v_exp_f32_e32 v35, v35                                     // 0000000087EC: 7E464123
	v_max_f32_e32 v169, v184, v166                             // 0000000087F0: 17534DB8
	v_mul_f32_e64 v204, -s46, v169                             // 0000000087F4: D10500CC 2003522E
	v_mov_b32_e32 v205, v204                                   // 0000000087FC: 7F9A03CC
	v_pk_fma_f32 v[36:37], v[36:37], s[46:47], v[204:205]      // 000000008800: D3B04024 1F305D24
	v_pk_fma_f32 v[38:39], v[38:39], s[46:47], v[204:205]      // 000000008808: D3B04026 1F305D26
	v_exp_f32_e32 v36, v36                                     // 000000008810: 7E484124
	v_exp_f32_e32 v37, v37                                     // 000000008814: 7E4A4125
	v_exp_f32_e32 v38, v38                                     // 000000008818: 7E4C4126
	v_exp_f32_e32 v39, v39                                     // 00000000881C: 7E4E4127
	v_pk_fma_f32 v[40:41], v[40:41], s[46:47], v[204:205]      // 000000008820: D3B04028 1F305D28
	v_pk_fma_f32 v[42:43], v[42:43], s[46:47], v[204:205]      // 000000008828: D3B0402A 1F305D2A
	v_exp_f32_e32 v40, v40                                     // 000000008830: 7E504128
	v_exp_f32_e32 v41, v41                                     // 000000008834: 7E524129
	v_exp_f32_e32 v42, v42                                     // 000000008838: 7E54412A
	v_exp_f32_e32 v43, v43                                     // 00000000883C: 7E56412B
	v_pk_fma_f32 v[44:45], v[44:45], s[46:47], v[204:205]      // 000000008840: D3B0402C 1F305D2C
	v_pk_fma_f32 v[46:47], v[46:47], s[46:47], v[204:205]      // 000000008848: D3B0402E 1F305D2E
	v_exp_f32_e32 v44, v44                                     // 000000008850: 7E58412C
	v_exp_f32_e32 v45, v45                                     // 000000008854: 7E5A412D
	v_exp_f32_e32 v46, v46                                     // 000000008858: 7E5C412E
	v_exp_f32_e32 v47, v47                                     // 00000000885C: 7E5E412F
	v_pk_fma_f32 v[48:49], v[48:49], s[46:47], v[204:205]      // 000000008860: D3B04030 1F305D30
	v_pk_fma_f32 v[50:51], v[50:51], s[46:47], v[204:205]      // 000000008868: D3B04032 1F305D32
	v_exp_f32_e32 v48, v48                                     // 000000008870: 7E604130
	v_exp_f32_e32 v49, v49                                     // 000000008874: 7E624131
	v_exp_f32_e32 v50, v50                                     // 000000008878: 7E644132
	v_exp_f32_e32 v51, v51                                     // 00000000887C: 7E664133
	v_mul_f32_dpp v52, v156, v4 row_newbcast:0 row_mask:0xf bank_mask:0xf// 000000008880: 0A6808FA FF01509C
	v_mul_f32_dpp v53, v156, v5 row_newbcast:1 row_mask:0xf bank_mask:0xf// 000000008888: 0A6A0AFA FF01519C
	v_mul_f32_dpp v54, v156, v6 row_newbcast:2 row_mask:0xf bank_mask:0xf// 000000008890: 0A6C0CFA FF01529C
	v_mul_f32_dpp v55, v156, v7 row_newbcast:3 row_mask:0xf bank_mask:0xf// 000000008898: 0A6E0EFA FF01539C
	v_mul_f32_dpp v56, v156, v8 row_newbcast:4 row_mask:0xf bank_mask:0xf// 0000000088A0: 0A7010FA FF01549C
	v_mul_f32_dpp v57, v156, v9 row_newbcast:5 row_mask:0xf bank_mask:0xf// 0000000088A8: 0A7212FA FF01559C
	v_mul_f32_dpp v58, v156, v10 row_newbcast:6 row_mask:0xf bank_mask:0xf// 0000000088B0: 0A7414FA FF01569C
	v_mul_f32_dpp v59, v156, v11 row_newbcast:7 row_mask:0xf bank_mask:0xf// 0000000088B8: 0A7616FA FF01579C
	v_mul_f32_dpp v60, v156, v12 row_newbcast:8 row_mask:0xf bank_mask:0xf// 0000000088C0: 0A7818FA FF01589C
	v_mul_f32_dpp v61, v156, v13 row_newbcast:9 row_mask:0xf bank_mask:0xf// 0000000088C8: 0A7A1AFA FF01599C
	v_mul_f32_dpp v62, v156, v14 row_newbcast:10 row_mask:0xf bank_mask:0xf// 0000000088D0: 0A7C1CFA FF015A9C
	v_mul_f32_dpp v63, v156, v15 row_newbcast:11 row_mask:0xf bank_mask:0xf// 0000000088D8: 0A7E1EFA FF015B9C
	v_mul_f32_dpp v64, v156, v16 row_newbcast:12 row_mask:0xf bank_mask:0xf// 0000000088E0: 0A8020FA FF015C9C
	v_mul_f32_dpp v65, v156, v17 row_newbcast:13 row_mask:0xf bank_mask:0xf// 0000000088E8: 0A8222FA FF015D9C
	v_mul_f32_dpp v66, v156, v18 row_newbcast:14 row_mask:0xf bank_mask:0xf// 0000000088F0: 0A8424FA FF015E9C
	v_mul_f32_dpp v67, v156, v19 row_newbcast:15 row_mask:0xf bank_mask:0xf// 0000000088F8: 0A8626FA FF015F9C
	v_mul_f32_dpp v68, v156, v20 row_newbcast:0 row_mask:0xf bank_mask:0xf// 000000008900: 0A8828FA FF01509C
	v_mul_f32_dpp v69, v156, v21 row_newbcast:1 row_mask:0xf bank_mask:0xf// 000000008908: 0A8A2AFA FF01519C
	v_mul_f32_dpp v70, v156, v22 row_newbcast:2 row_mask:0xf bank_mask:0xf// 000000008910: 0A8C2CFA FF01529C
	v_mul_f32_dpp v71, v156, v23 row_newbcast:3 row_mask:0xf bank_mask:0xf// 000000008918: 0A8E2EFA FF01539C
	v_mul_f32_dpp v72, v156, v24 row_newbcast:4 row_mask:0xf bank_mask:0xf// 000000008920: 0A9030FA FF01549C
	v_mul_f32_dpp v73, v156, v25 row_newbcast:5 row_mask:0xf bank_mask:0xf// 000000008928: 0A9232FA FF01559C
	v_mul_f32_dpp v74, v156, v26 row_newbcast:6 row_mask:0xf bank_mask:0xf// 000000008930: 0A9434FA FF01569C
	v_mul_f32_dpp v75, v156, v27 row_newbcast:7 row_mask:0xf bank_mask:0xf// 000000008938: 0A9636FA FF01579C
	v_mul_f32_dpp v76, v156, v28 row_newbcast:8 row_mask:0xf bank_mask:0xf// 000000008940: 0A9838FA FF01589C
	v_mul_f32_dpp v77, v156, v29 row_newbcast:9 row_mask:0xf bank_mask:0xf// 000000008948: 0A9A3AFA FF01599C
	v_mul_f32_dpp v78, v156, v30 row_newbcast:10 row_mask:0xf bank_mask:0xf// 000000008950: 0A9C3CFA FF015A9C
	v_mul_f32_dpp v79, v156, v31 row_newbcast:11 row_mask:0xf bank_mask:0xf// 000000008958: 0A9E3EFA FF015B9C
	v_mul_f32_dpp v80, v156, v32 row_newbcast:12 row_mask:0xf bank_mask:0xf// 000000008960: 0AA040FA FF015C9C
	v_mul_f32_dpp v81, v156, v33 row_newbcast:13 row_mask:0xf bank_mask:0xf// 000000008968: 0AA242FA FF015D9C
	v_mul_f32_dpp v82, v156, v34 row_newbcast:14 row_mask:0xf bank_mask:0xf// 000000008970: 0AA444FA FF015E9C
	v_mul_f32_dpp v83, v156, v35 row_newbcast:15 row_mask:0xf bank_mask:0xf// 000000008978: 0AA646FA FF015F9C
	v_mul_f32_dpp v84, v156, v36 row_newbcast:0 row_mask:0xf bank_mask:0xf// 000000008980: 0AA848FA FF01509C
	v_mul_f32_dpp v85, v156, v37 row_newbcast:1 row_mask:0xf bank_mask:0xf// 000000008988: 0AAA4AFA FF01519C
	v_mul_f32_dpp v86, v156, v38 row_newbcast:2 row_mask:0xf bank_mask:0xf// 000000008990: 0AAC4CFA FF01529C
	v_mul_f32_dpp v87, v156, v39 row_newbcast:3 row_mask:0xf bank_mask:0xf// 000000008998: 0AAE4EFA FF01539C
	v_mul_f32_dpp v88, v156, v40 row_newbcast:4 row_mask:0xf bank_mask:0xf// 0000000089A0: 0AB050FA FF01549C
	v_mul_f32_dpp v89, v156, v41 row_newbcast:5 row_mask:0xf bank_mask:0xf// 0000000089A8: 0AB252FA FF01559C
	v_mul_f32_dpp v90, v156, v42 row_newbcast:6 row_mask:0xf bank_mask:0xf// 0000000089B0: 0AB454FA FF01569C
	v_mul_f32_dpp v91, v156, v43 row_newbcast:7 row_mask:0xf bank_mask:0xf// 0000000089B8: 0AB656FA FF01579C
	v_mul_f32_dpp v92, v156, v44 row_newbcast:8 row_mask:0xf bank_mask:0xf// 0000000089C0: 0AB858FA FF01589C
	v_mul_f32_dpp v93, v156, v45 row_newbcast:9 row_mask:0xf bank_mask:0xf// 0000000089C8: 0ABA5AFA FF01599C
	v_mul_f32_dpp v94, v156, v46 row_newbcast:10 row_mask:0xf bank_mask:0xf// 0000000089D0: 0ABC5CFA FF015A9C
	v_mul_f32_dpp v95, v156, v47 row_newbcast:11 row_mask:0xf bank_mask:0xf// 0000000089D8: 0ABE5EFA FF015B9C
	v_mul_f32_dpp v96, v156, v48 row_newbcast:12 row_mask:0xf bank_mask:0xf// 0000000089E0: 0AC060FA FF015C9C
	v_mul_f32_dpp v97, v156, v49 row_newbcast:13 row_mask:0xf bank_mask:0xf// 0000000089E8: 0AC262FA FF015D9C
	v_mul_f32_dpp v98, v156, v50 row_newbcast:14 row_mask:0xf bank_mask:0xf// 0000000089F0: 0AC464FA FF015E9C
	v_mul_f32_dpp v99, v156, v51 row_newbcast:15 row_mask:0xf bank_mask:0xf// 0000000089F8: 0AC666FA FF015F9C
	v_mov_b32_e32 v182, 0x358637bd                             // 000000008A00: 7F6C02FF 358637BD
	v_max3_f32 v182, |v52|, |v53|, v182                        // 000000008A08: D1D303B6 06DA6B34
	v_max3_f32 v182, |v54|, |v55|, v182                        // 000000008A10: D1D303B6 06DA6F36
	v_max3_f32 v182, |v56|, |v57|, v182                        // 000000008A18: D1D303B6 06DA7338
	v_max3_f32 v182, |v58|, |v59|, v182                        // 000000008A20: D1D303B6 06DA773A
	v_max3_f32 v182, |v60|, |v61|, v182                        // 000000008A28: D1D303B6 06DA7B3C
	v_max3_f32 v182, |v62|, |v63|, v182                        // 000000008A30: D1D303B6 06DA7F3E
	v_max3_f32 v182, |v64|, |v65|, v182                        // 000000008A38: D1D303B6 06DA8340
	v_max3_f32 v182, |v66|, |v67|, v182                        // 000000008A40: D1D303B6 06DA8742
	v_mov_b32_e32 v183, 0x358637bd                             // 000000008A48: 7F6E02FF 358637BD
	v_max3_f32 v183, |v68|, |v69|, v183                        // 000000008A50: D1D303B7 06DE8B44
	v_max3_f32 v183, |v70|, |v71|, v183                        // 000000008A58: D1D303B7 06DE8F46
	v_max3_f32 v183, |v72|, |v73|, v183                        // 000000008A60: D1D303B7 06DE9348
	v_max3_f32 v183, |v74|, |v75|, v183                        // 000000008A68: D1D303B7 06DE974A
	v_max3_f32 v183, |v76|, |v77|, v183                        // 000000008A70: D1D303B7 06DE9B4C
	v_max3_f32 v183, |v78|, |v79|, v183                        // 000000008A78: D1D303B7 06DE9F4E
	v_max3_f32 v183, |v80|, |v81|, v183                        // 000000008A80: D1D303B7 06DEA350
	v_max3_f32 v183, |v82|, |v83|, v183                        // 000000008A88: D1D303B7 06DEA752
	v_mov_b32_e32 v184, 0x358637bd                             // 000000008A90: 7F7002FF 358637BD
	v_max3_f32 v184, |v84|, |v85|, v184                        // 000000008A98: D1D303B8 06E2AB54
	v_max3_f32 v184, |v86|, |v87|, v184                        // 000000008AA0: D1D303B8 06E2AF56
	v_max3_f32 v184, |v88|, |v89|, v184                        // 000000008AA8: D1D303B8 06E2B358
	v_max3_f32 v184, |v90|, |v91|, v184                        // 000000008AB0: D1D303B8 06E2B75A
	v_max3_f32 v184, |v92|, |v93|, v184                        // 000000008AB8: D1D303B8 06E2BB5C
	v_max3_f32 v184, |v94|, |v95|, v184                        // 000000008AC0: D1D303B8 06E2BF5E
	v_max3_f32 v184, |v96|, |v97|, v184                        // 000000008AC8: D1D303B8 06E2C360
	v_max3_f32 v184, |v98|, |v99|, v184                        // 000000008AD0: D1D303B8 06E2C762
	ds_bpermute_b32 v188, v208, v182                           // 000000008AD8: D87E0000 BC00B6D0
	ds_bpermute_b32 v189, v209, v182                           // 000000008AE0: D87E0000 BD00B6D1
	ds_bpermute_b32 v190, v210, v182                           // 000000008AE8: D87E0000 BE00B6D2
	ds_bpermute_b32 v191, v208, v183                           // 000000008AF0: D87E0000 BF00B7D0
	ds_bpermute_b32 v192, v209, v183                           // 000000008AF8: D87E0000 C000B7D1
	ds_bpermute_b32 v193, v210, v183                           // 000000008B00: D87E0000 C100B7D2
	ds_bpermute_b32 v194, v208, v184                           // 000000008B08: D87E0000 C200B8D0
	ds_bpermute_b32 v195, v209, v184                           // 000000008B10: D87E0000 C300B8D1
	ds_bpermute_b32 v196, v210, v184                           // 000000008B18: D87E0000 C400B8D2
	s_waitcnt lgkmcnt(6)                                       // 000000008B20: BF8CC67F
	v_max3_f32 v182, v188, v189, v182                          // 000000008B24: D1D300B6 06DB7BBC
	v_max_f32_e32 v182, v190, v182                             // 000000008B2C: 176D6DBE
	s_waitcnt lgkmcnt(3)                                       // 000000008B30: BF8CC37F
	v_max3_f32 v183, v191, v192, v183                          // 000000008B34: D1D300B7 06DF81BF
	v_max_f32_e32 v183, v193, v183                             // 000000008B3C: 176F6FC1
	s_waitcnt lgkmcnt(0)                                       // 000000008B40: BF8CC07F
	v_max3_f32 v184, v194, v195, v184                          // 000000008B44: D1D300B8 06E387C2
	v_max_f32_e32 v184, v196, v184                             // 000000008B4C: 177171C4
	ds_write_b128 v249, v[182:185] offset:4096                 // 000000008B50: D9BE1000 0000B6F9
	buffer_load_dword v155, v235, s[20:23], 0 offen            // 000000008B58: E0501000 80059BEB
	v_sub_f32_e32 v170, v164, v167                             // 000000008B60: 05554FA4
	v_cmp_eq_u32_e64 s[98:99], v222, v164                      // 000000008B64: D0CA0062 000349DE
	v_cndmask_b32_e64 v170, v170, 0, s[98:99]                  // 000000008B6C: D10000AA 018901AA
	v_mov_b32_e32 v164, v167                                   // 000000008B74: 7F4803A7
	v_mul_f32_e32 v170, s46, v170                              // 000000008B78: 0B55542E
	v_exp_f32_e32 v170, v170                                   // 000000008B7C: 7F5441AA
	v_sub_f32_e32 v172, v165, v168                             // 000000008B80: 055951A5
	v_cmp_eq_u32_e64 s[98:99], v222, v165                      // 000000008B84: D0CA0062 00034BDE
	v_cndmask_b32_e64 v172, v172, 0, s[98:99]                  // 000000008B8C: D10000AC 018901AC
	v_mov_b32_e32 v165, v168                                   // 000000008B94: 7F4A03A8
	v_mul_f32_e32 v172, s46, v172                              // 000000008B98: 0B59582E
	v_exp_f32_e32 v172, v172                                   // 000000008B9C: 7F5841AC
	v_sub_f32_e32 v174, v166, v169                             // 000000008BA0: 055D53A6
	v_cmp_eq_u32_e64 s[98:99], v222, v166                      // 000000008BA4: D0CA0062 00034DDE
	v_cndmask_b32_e64 v174, v174, 0, s[98:99]                  // 000000008BAC: D10000AE 018901AE
	v_mov_b32_e32 v166, v169                                   // 000000008BB4: 7F4C03A9
	v_mul_f32_e32 v174, s46, v174                              // 000000008BB8: 0B5D5C2E
	v_exp_f32_e32 v174, v174                                   // 000000008BBC: 7F5C41AE
	v_mov_b32_e32 v171, v170                                   // 000000008BC0: 7F5603AA
	v_mov_b32_e32 v173, v172                                   // 000000008BC4: 7F5A03AC
	v_mov_b32_e32 v175, v174                                   // 000000008BC8: 7F5E03AE
	s_waitcnt lgkmcnt(0)                                       // 000000008BCC: BF8CC07F
	s_barrier                                                  // 000000008BD0: BF8A0000
	buffer_load_dword v157, v236, s[24:27], 0 offen            // 000000008BD4: E0501000 80069DEC
	v_mul_f32_e32 v176, v170, v176                             // 000000008BDC: 0B6161AA
	v_mov_b32_e32 v177, 0                                      // 000000008BE0: 7F620280
	v_pk_add_f32 v[176:177], v[4:5], v[176:177]                // 000000008BE4: D3B240B0 18036104
	v_pk_add_f32 v[176:177], v[6:7], v[176:177]                // 000000008BEC: D3B240B0 18036106
	v_pk_add_f32 v[176:177], v[8:9], v[176:177]                // 000000008BF4: D3B240B0 18036108
	v_pk_add_f32 v[176:177], v[10:11], v[176:177]              // 000000008BFC: D3B240B0 1803610A
	v_pk_add_f32 v[176:177], v[12:13], v[176:177]              // 000000008C04: D3B240B0 1803610C
	v_pk_add_f32 v[176:177], v[14:15], v[176:177]              // 000000008C0C: D3B240B0 1803610E
	v_pk_add_f32 v[176:177], v[16:17], v[176:177]              // 000000008C14: D3B240B0 18036110
	v_pk_add_f32 v[176:177], v[18:19], v[176:177]              // 000000008C1C: D3B240B0 18036112
	v_add_f32_e32 v176, v177, v176                             // 000000008C24: 036161B1
	v_mul_f32_e32 v178, v172, v178                             // 000000008C28: 0B6565AC
	v_mov_b32_e32 v179, 0                                      // 000000008C2C: 7F660280
	v_pk_add_f32 v[178:179], v[20:21], v[178:179]              // 000000008C30: D3B240B2 18036514
	v_pk_add_f32 v[178:179], v[22:23], v[178:179]              // 000000008C38: D3B240B2 18036516
	v_pk_add_f32 v[178:179], v[24:25], v[178:179]              // 000000008C40: D3B240B2 18036518
	v_pk_add_f32 v[178:179], v[26:27], v[178:179]              // 000000008C48: D3B240B2 1803651A
	v_pk_add_f32 v[178:179], v[28:29], v[178:179]              // 000000008C50: D3B240B2 1803651C
	v_pk_add_f32 v[178:179], v[30:31], v[178:179]              // 000000008C58: D3B240B2 1803651E
	v_pk_add_f32 v[178:179], v[32:33], v[178:179]              // 000000008C60: D3B240B2 18036520
	v_pk_add_f32 v[178:179], v[34:35], v[178:179]              // 000000008C68: D3B240B2 18036522
	v_add_f32_e32 v178, v179, v178                             // 000000008C70: 036565B3
	v_mul_f32_e32 v180, v174, v180                             // 000000008C74: 0B6969AE
	v_mov_b32_e32 v181, 0                                      // 000000008C78: 7F6A0280
	v_pk_add_f32 v[180:181], v[36:37], v[180:181]              // 000000008C7C: D3B240B4 18036924
	v_pk_add_f32 v[180:181], v[38:39], v[180:181]              // 000000008C84: D3B240B4 18036926
	v_pk_add_f32 v[180:181], v[40:41], v[180:181]              // 000000008C8C: D3B240B4 18036928
	v_pk_add_f32 v[180:181], v[42:43], v[180:181]              // 000000008C94: D3B240B4 1803692A
	v_pk_add_f32 v[180:181], v[44:45], v[180:181]              // 000000008C9C: D3B240B4 1803692C
	v_pk_add_f32 v[180:181], v[46:47], v[180:181]              // 000000008CA4: D3B240B4 1803692E
	v_pk_add_f32 v[180:181], v[48:49], v[180:181]              // 000000008CAC: D3B240B4 18036930
	v_pk_add_f32 v[180:181], v[50:51], v[180:181]              // 000000008CB4: D3B240B4 18036932
	v_add_f32_e32 v180, v181, v180                             // 000000008CBC: 036969B5
	ds_read_b128 v[188:191], v250 offset:4096                  // 000000008CC0: D9FE1000 BC0000FA
	ds_read_b128 v[192:195], v250 offset:4352                  // 000000008CC8: D9FE1100 C00000FA
	ds_read_b128 v[196:199], v250 offset:4608                  // 000000008CD0: D9FE1200 C40000FA
	ds_read_b128 v[200:203], v250 offset:4864                  // 000000008CD8: D9FE1300 C80000FA
	s_waitcnt lgkmcnt(0)                                       // 000000008CE0: BF8CC07F
	v_max3_f32 v182, v188, v192, v182                          // 000000008CE4: D1D300B6 06DB81BC
	v_max3_f32 v183, v189, v193, v183                          // 000000008CEC: D1D300B7 06DF83BD
	v_max3_f32 v184, v190, v194, v184                          // 000000008CF4: D1D300B8 06E385BE
	v_max3_f32 v182, v196, v200, v182                          // 000000008CFC: D1D300B6 06DB91C4
	v_max3_f32 v183, v197, v201, v183                          // 000000008D04: D1D300B7 06DF93C5
	v_max3_f32 v184, v198, v202, v184                          // 000000008D0C: D1D300B8 06E395C6
	v_rcp_f32_e32 v182, v182                                   // 000000008D14: 7F6C45B6
	v_rcp_f32_e32 v183, v183                                   // 000000008D18: 7F6E45B7
	v_rcp_f32_e32 v184, v184                                   // 000000008D1C: 7F7045B8
	v_mul_f32_e32 v182, 0x43700000, v182                       // 000000008D20: 0B6D6CFF 43700000
	v_mul_f32_e32 v183, 0x43700000, v183                       // 000000008D28: 0B6F6EFF 43700000
	v_mul_f32_e32 v184, 0x43700000, v184                       // 000000008D30: 0B7170FF 43700000
	v_mov_b32_e32 v186, v184                                   // 000000008D38: 7F7403B8
	v_mov_b32_e32 v187, v184                                   // 000000008D3C: 7F7603B8
	v_mov_b32_e32 v184, v183                                   // 000000008D40: 7F7003B7
	v_mov_b32_e32 v185, v183                                   // 000000008D44: 7F7203B7
	v_mov_b32_e32 v183, v182                                   // 000000008D48: 7F6E03B6
	v_pk_mul_f32 v[4:5], v[182:183], v[52:53]                  // 000000008D4C: D3B14004 180269B6
	v_pk_mul_f32 v[6:7], v[182:183], v[54:55]                  // 000000008D54: D3B14006 18026DB6
	v_pk_mul_f32 v[8:9], v[182:183], v[56:57]                  // 000000008D5C: D3B14008 180271B6
	v_pk_mul_f32 v[10:11], v[182:183], v[58:59]                // 000000008D64: D3B1400A 180275B6
	v_pk_mul_f32 v[12:13], v[182:183], v[60:61]                // 000000008D6C: D3B1400C 180279B6
	v_pk_mul_f32 v[14:15], v[182:183], v[62:63]                // 000000008D74: D3B1400E 18027DB6
	v_pk_mul_f32 v[16:17], v[182:183], v[64:65]                // 000000008D7C: D3B14010 180281B6
	v_pk_mul_f32 v[18:19], v[182:183], v[66:67]                // 000000008D84: D3B14012 180285B6
	v_pk_mul_f32 v[20:21], v[184:185], v[68:69]                // 000000008D8C: D3B14014 180289B8
	v_pk_mul_f32 v[22:23], v[184:185], v[70:71]                // 000000008D94: D3B14016 18028DB8
	v_pk_mul_f32 v[24:25], v[184:185], v[72:73]                // 000000008D9C: D3B14018 180291B8
	v_pk_mul_f32 v[26:27], v[184:185], v[74:75]                // 000000008DA4: D3B1401A 180295B8
	v_pk_mul_f32 v[28:29], v[184:185], v[76:77]                // 000000008DAC: D3B1401C 180299B8
	v_pk_mul_f32 v[30:31], v[184:185], v[78:79]                // 000000008DB4: D3B1401E 18029DB8
	v_pk_mul_f32 v[32:33], v[184:185], v[80:81]                // 000000008DBC: D3B14020 1802A1B8
	v_pk_mul_f32 v[34:35], v[184:185], v[82:83]                // 000000008DC4: D3B14022 1802A5B8
	v_pk_mul_f32 v[36:37], v[186:187], v[84:85]                // 000000008DCC: D3B14024 1802A9BA
	v_pk_mul_f32 v[38:39], v[186:187], v[86:87]                // 000000008DD4: D3B14026 1802ADBA
	v_pk_mul_f32 v[40:41], v[186:187], v[88:89]                // 000000008DDC: D3B14028 1802B1BA
	v_pk_mul_f32 v[42:43], v[186:187], v[90:91]                // 000000008DE4: D3B1402A 1802B5BA
	v_pk_mul_f32 v[44:45], v[186:187], v[92:93]                // 000000008DEC: D3B1402C 1802B9BA
	v_pk_mul_f32 v[46:47], v[186:187], v[94:95]                // 000000008DF4: D3B1402E 1802BDBA
	v_pk_mul_f32 v[48:49], v[186:187], v[96:97]                // 000000008DFC: D3B14030 1802C1BA
	v_pk_mul_f32 v[50:51], v[186:187], v[98:99]                // 000000008E04: D3B14032 1802C5BA
	v_cvt_pk_fp8_f32 v4, v4, v5                                // 000000008E0C: D2A20004 00020B04
	v_cvt_pk_fp8_f32 v4, v6, v7 op_sel:[0,0,1]                 // 000000008E14: D2A24004 00020F06
	v_cvt_pk_fp8_f32 v5, v8, v9                                // 000000008E1C: D2A20005 00021308
	v_cvt_pk_fp8_f32 v5, v10, v11 op_sel:[0,0,1]               // 000000008E24: D2A24005 0002170A
	v_cvt_pk_fp8_f32 v6, v12, v13                              // 000000008E2C: D2A20006 00021B0C
	v_cvt_pk_fp8_f32 v6, v14, v15 op_sel:[0,0,1]               // 000000008E34: D2A24006 00021F0E
	v_cvt_pk_fp8_f32 v7, v16, v17                              // 000000008E3C: D2A20007 00022310
	v_cvt_pk_fp8_f32 v7, v18, v19 op_sel:[0,0,1]               // 000000008E44: D2A24007 00022712
	v_cvt_pk_fp8_f32 v8, v20, v21                              // 000000008E4C: D2A20008 00022B14
	v_cvt_pk_fp8_f32 v8, v22, v23 op_sel:[0,0,1]               // 000000008E54: D2A24008 00022F16
	v_cvt_pk_fp8_f32 v9, v24, v25                              // 000000008E5C: D2A20009 00023318
	v_cvt_pk_fp8_f32 v9, v26, v27 op_sel:[0,0,1]               // 000000008E64: D2A24009 0002371A
	v_cvt_pk_fp8_f32 v10, v28, v29                             // 000000008E6C: D2A2000A 00023B1C
	v_cvt_pk_fp8_f32 v10, v30, v31 op_sel:[0,0,1]              // 000000008E74: D2A2400A 00023F1E
	v_cvt_pk_fp8_f32 v11, v32, v33                             // 000000008E7C: D2A2000B 00024320
	v_cvt_pk_fp8_f32 v11, v34, v35 op_sel:[0,0,1]              // 000000008E84: D2A2400B 00024722
	v_cvt_pk_fp8_f32 v12, v36, v37                             // 000000008E8C: D2A2000C 00024B24
	v_cvt_pk_fp8_f32 v12, v38, v39 op_sel:[0,0,1]              // 000000008E94: D2A2400C 00024F26
	v_cvt_pk_fp8_f32 v13, v40, v41                             // 000000008E9C: D2A2000D 00025328
	v_cvt_pk_fp8_f32 v13, v42, v43 op_sel:[0,0,1]              // 000000008EA4: D2A2400D 0002572A
	v_cvt_pk_fp8_f32 v14, v44, v45                             // 000000008EAC: D2A2000E 00025B2C
	v_cvt_pk_fp8_f32 v14, v46, v47 op_sel:[0,0,1]              // 000000008EB4: D2A2400E 00025F2E
	v_cvt_pk_fp8_f32 v15, v48, v49                             // 000000008EBC: D2A2000F 00026330
	v_cvt_pk_fp8_f32 v15, v50, v51 op_sel:[0,0,1]              // 000000008EC4: D2A2400F 00026732
	ds_write_b32 v251, v4 offset:8192                          // 000000008ECC: D81A2000 000004FB
	ds_write_b32 v251, v5 offset:9216                          // 000000008ED4: D81A2400 000005FB
	ds_write_b32 v251, v6 offset:10240                         // 000000008EDC: D81A2800 000006FB
	ds_write_b32 v251, v7 offset:11264                         // 000000008EE4: D81A2C00 000007FB
	ds_write_b32 v251, v8 offset:12288                         // 000000008EEC: D81A3000 000008FB
	ds_write_b32 v251, v9 offset:13312                         // 000000008EF4: D81A3400 000009FB
	ds_write_b32 v251, v10 offset:14336                        // 000000008EFC: D81A3800 00000AFB
	ds_write_b32 v251, v11 offset:15360                        // 000000008F04: D81A3C00 00000BFB
	ds_write_b32 v251, v12 offset:16384                        // 000000008F0C: D81A4000 00000CFB
	ds_write_b32 v251, v13 offset:17408                        // 000000008F14: D81A4400 00000DFB
	ds_write_b32 v251, v14 offset:18432                        // 000000008F1C: D81A4800 00000EFB
	ds_write_b32 v251, v15 offset:19456                        // 000000008F24: D81A4C00 00000FFB
	v_rcp_f32_e32 v158, v182                                   // 000000008F2C: 7F3C45B6
	v_rcp_f32_e32 v160, v184                                   // 000000008F30: 7F4045B8
	v_rcp_f32_e32 v162, v186                                   // 000000008F34: 7F4445BA
	v_mov_b32_e32 v159, v158                                   // 000000008F38: 7F3E039E
	v_mov_b32_e32 v161, v160                                   // 000000008F3C: 7F4203A0
	v_mov_b32_e32 v163, v162                                   // 000000008F40: 7F4603A2
	v_pk_add_f32 v[124:125], v[124:125], v[100:101]            // 000000008F44: D3B2407C 1802C97C
	v_pk_add_f32 v[126:127], v[126:127], v[102:103]            // 000000008F4C: D3B2407E 1802CD7E
	v_pk_add_f32 v[128:129], v[128:129], v[104:105]            // 000000008F54: D3B24080 1802D180
	v_pk_add_f32 v[130:131], v[130:131], v[106:107]            // 000000008F5C: D3B24082 1802D582
	v_pk_add_f32 v[132:133], v[132:133], v[108:109]            // 000000008F64: D3B24084 1802D984
	v_pk_add_f32 v[134:135], v[134:135], v[110:111]            // 000000008F6C: D3B24086 1802DD86
	v_pk_add_f32 v[136:137], v[136:137], v[112:113]            // 000000008F74: D3B24088 1802E188
	v_pk_add_f32 v[138:139], v[138:139], v[114:115]            // 000000008F7C: D3B2408A 1802E58A
	v_pk_add_f32 v[140:141], v[140:141], v[116:117]            // 000000008F84: D3B2408C 1802E98C
	v_pk_add_f32 v[142:143], v[142:143], v[118:119]            // 000000008F8C: D3B2408E 1802ED8E
	v_pk_add_f32 v[144:145], v[144:145], v[120:121]            // 000000008F94: D3B24090 1802F190
	v_pk_add_f32 v[146:147], v[146:147], v[122:123]            // 000000008F9C: D3B24092 1802F592
	s_waitcnt lgkmcnt(0)                                       // 000000008FA4: BF8CC07F
	s_barrier                                                  // 000000008FA8: BF8A0000
	ds_read_b128 v[4:7], v252 offset:8192                      // 000000008FAC: D9FE2000 040000FC
	ds_read_b128 v[8:11], v252 offset:9216                     // 000000008FB4: D9FE2400 080000FC
	ds_read_b128 v[12:15], v252 offset:10240                   // 000000008FBC: D9FE2800 0C0000FC
	ds_read_b128 v[16:19], v252 offset:11264                   // 000000008FC4: D9FE2C00 100000FC
	ds_read_b128 v[20:23], v252 offset:12288                   // 000000008FCC: D9FE3000 140000FC
	ds_read_b128 v[24:27], v252 offset:13312                   // 000000008FD4: D9FE3400 180000FC
	ds_read_b128 v[28:31], v252 offset:14336                   // 000000008FDC: D9FE3800 1C0000FC
	ds_read_b128 v[32:35], v252 offset:15360                   // 000000008FE4: D9FE3C00 200000FC
	ds_read_b128 v[36:39], v252 offset:16384                   // 000000008FEC: D9FE4000 240000FC
	ds_read_b128 v[40:43], v252 offset:17408                   // 000000008FF4: D9FE4400 280000FC
	ds_read_b128 v[44:47], v252 offset:18432                   // 000000008FFC: D9FE4800 2C0000FC
	ds_read_b128 v[48:51], v252 offset:19456                   // 000000009004: D9FE4C00 300000FC
	s_waitcnt vmcnt(10)                                        // 00000000900C: BF8C0F7A
	s_waitcnt lgkmcnt(11)                                      // 000000009010: BF8CCB7F
	v_mfma_f32_16x16x32_fp8_fp8 v[100:103], a[88:89], v[4:5], 0// 000000009014: D3F30064 0A020958
	s_lshl_b32 s68, s76, 2                                     // 00000000901C: 8E44824C
	v_mfma_f32_16x16x32_fp8_fp8 v[104:107], a[104:105], v[4:5], 0// 000000009020: D3F30068 0A020968
	s_cmp_lt_u32 s76, s77                                      // 000000009028: BF0A4D4C
	s_cselect_b32 s68, s68, 0                                  // 00000000902C: 85448044
	v_mfma_f32_16x16x32_fp8_fp8 v[100:103], a[90:91], v[6:7], v[100:103]// 000000009030: D3F30064 0D920D5A
	buffer_load_dwordx4 a[120:123], v231, s[16:19], 0 offen    // 000000009038: E05C1000 808478E7
	v_mfma_f32_16x16x32_fp8_fp8 v[104:107], a[106:107], v[6:7], v[104:107]// 000000009040: D3F30068 0DA20D6A
	s_addk_i32 s76, 0x1                                        // 000000009048: B74C0001
	s_waitcnt lgkmcnt(10)                                      // 00000000904C: BF8CCA7F
	v_mfma_f32_16x16x32_fp8_fp8 v[100:103], a[92:93], v[8:9], v[100:103]// 000000009050: D3F30064 0D92115C
	v_mfma_f32_16x16x32_fp8_fp8 v[104:107], a[108:109], v[8:9], v[104:107]// 000000009058: D3F30068 0DA2116C
	v_mfma_f32_16x16x32_fp8_fp8 v[100:103], a[94:95], v[10:11], v[100:103]// 000000009060: D3F30064 0D92155E
	buffer_load_dwordx4 a[124:127], v232, s[16:19], 0 offen    // 000000009068: E05C1000 80847CE8
	v_mfma_f32_16x16x32_fp8_fp8 v[104:107], a[110:111], v[10:11], v[104:107]// 000000009070: D3F30068 0DA2156E
	s_waitcnt lgkmcnt(9)                                       // 000000009078: BF8CC97F
	v_mfma_f32_16x16x32_fp8_fp8 v[100:103], a[96:97], v[12:13], v[100:103]// 00000000907C: D3F30064 0D921960
	v_mfma_f32_16x16x32_fp8_fp8 v[104:107], a[112:113], v[12:13], v[104:107]// 000000009084: D3F30068 0DA21970
	v_mfma_f32_16x16x32_fp8_fp8 v[100:103], a[98:99], v[14:15], v[100:103]// 00000000908C: D3F30064 0D921D62
	buffer_load_dwordx4 a[128:131], v233, s[16:19], 0 offen    // 000000009094: E05C1000 808480E9
	v_mfma_f32_16x16x32_fp8_fp8 v[104:107], a[114:115], v[14:15], v[104:107]// 00000000909C: D3F30068 0DA21D72
	s_waitcnt lgkmcnt(8)                                       // 0000000090A4: BF8CC87F
	v_mfma_f32_16x16x32_fp8_fp8 v[100:103], a[100:101], v[16:17], v[100:103]// 0000000090A8: D3F30064 0D922164
	v_mfma_f32_16x16x32_fp8_fp8 v[104:107], a[116:117], v[16:17], v[104:107]// 0000000090B0: D3F30068 0DA22174
	v_mfma_f32_16x16x32_fp8_fp8 v[100:103], a[102:103], v[18:19], v[100:103]// 0000000090B8: D3F30064 0D922566
	buffer_load_dwordx4 a[132:135], v234, s[16:19], 0 offen    // 0000000090C0: E05C1000 808484EA
	v_mfma_f32_16x16x32_fp8_fp8 v[104:107], a[118:119], v[18:19], v[104:107]// 0000000090C8: D3F30068 0DA22576
	s_waitcnt lgkmcnt(7)                                       // 0000000090D0: BF8CC77F
	v_mfma_f32_16x16x32_fp8_fp8 v[108:111], a[88:89], v[20:21], 0// 0000000090D4: D3F3006C 0A022958
	v_mfma_f32_16x16x32_fp8_fp8 v[112:115], a[104:105], v[20:21], 0// 0000000090DC: D3F30070 0A022968
	v_mfma_f32_16x16x32_fp8_fp8 v[108:111], a[90:91], v[22:23], v[108:111]// 0000000090E4: D3F3006C 0DB22D5A
	buffer_load_dwordx4 a[136:139], v231, s[16:19], 0 offen offset:1024// 0000000090EC: E05C1400 808488E7
	v_mfma_f32_16x16x32_fp8_fp8 v[112:115], a[106:107], v[22:23], v[112:115]// 0000000090F4: D3F30070 0DC22D6A
	s_waitcnt lgkmcnt(6)                                       // 0000000090FC: BF8CC67F
	v_mfma_f32_16x16x32_fp8_fp8 v[108:111], a[92:93], v[24:25], v[108:111]// 000000009100: D3F3006C 0DB2315C
	v_mfma_f32_16x16x32_fp8_fp8 v[112:115], a[108:109], v[24:25], v[112:115]// 000000009108: D3F30070 0DC2316C
	v_mfma_f32_16x16x32_fp8_fp8 v[108:111], a[94:95], v[26:27], v[108:111]// 000000009110: D3F3006C 0DB2355E
	buffer_load_dwordx4 a[140:143], v232, s[16:19], 0 offen offset:1024// 000000009118: E05C1400 80848CE8
	v_mfma_f32_16x16x32_fp8_fp8 v[112:115], a[110:111], v[26:27], v[112:115]// 000000009120: D3F30070 0DC2356E
	s_waitcnt lgkmcnt(5)                                       // 000000009128: BF8CC57F
	v_mfma_f32_16x16x32_fp8_fp8 v[108:111], a[96:97], v[28:29], v[108:111]// 00000000912C: D3F3006C 0DB23960
	v_mfma_f32_16x16x32_fp8_fp8 v[112:115], a[112:113], v[28:29], v[112:115]// 000000009134: D3F30070 0DC23970
	v_mfma_f32_16x16x32_fp8_fp8 v[108:111], a[98:99], v[30:31], v[108:111]// 00000000913C: D3F3006C 0DB23D62
	buffer_load_dwordx4 a[144:147], v233, s[16:19], 0 offen offset:1024// 000000009144: E05C1400 808490E9
	v_mfma_f32_16x16x32_fp8_fp8 v[112:115], a[114:115], v[30:31], v[112:115]// 00000000914C: D3F30070 0DC23D72
	s_waitcnt lgkmcnt(4)                                       // 000000009154: BF8CC47F
	v_mfma_f32_16x16x32_fp8_fp8 v[108:111], a[100:101], v[32:33], v[108:111]// 000000009158: D3F3006C 0DB24164
	v_mfma_f32_16x16x32_fp8_fp8 v[112:115], a[116:117], v[32:33], v[112:115]// 000000009160: D3F30070 0DC24174
	v_mfma_f32_16x16x32_fp8_fp8 v[108:111], a[102:103], v[34:35], v[108:111]// 000000009168: D3F3006C 0DB24566
	buffer_load_dwordx4 a[148:151], v234, s[16:19], 0 offen offset:1024// 000000009170: E05C1400 808494EA
	v_mfma_f32_16x16x32_fp8_fp8 v[112:115], a[118:119], v[34:35], v[112:115]// 000000009178: D3F30070 0DC24576
	s_waitcnt lgkmcnt(3)                                       // 000000009180: BF8CC37F
	v_mfma_f32_16x16x32_fp8_fp8 v[116:119], a[88:89], v[36:37], 0// 000000009184: D3F30074 0A024958
	v_mfma_f32_16x16x32_fp8_fp8 v[120:123], a[104:105], v[36:37], 0// 00000000918C: D3F30078 0A024968
	v_mfma_f32_16x16x32_fp8_fp8 v[116:119], a[90:91], v[38:39], v[116:119]// 000000009194: D3F30074 0DD24D5A
	v_mfma_f32_16x16x32_fp8_fp8 v[120:123], a[106:107], v[38:39], v[120:123]// 00000000919C: D3F30078 0DE24D6A
	s_waitcnt lgkmcnt(2)                                       // 0000000091A4: BF8CC27F
	v_mfma_f32_16x16x32_fp8_fp8 v[116:119], a[92:93], v[40:41], v[116:119]// 0000000091A8: D3F30074 0DD2515C
	v_mfma_f32_16x16x32_fp8_fp8 v[120:123], a[108:109], v[40:41], v[120:123]// 0000000091B0: D3F30078 0DE2516C
	v_mfma_f32_16x16x32_fp8_fp8 v[116:119], a[94:95], v[42:43], v[116:119]// 0000000091B8: D3F30074 0DD2555E
	v_mfma_f32_16x16x32_fp8_fp8 v[120:123], a[110:111], v[42:43], v[120:123]// 0000000091C0: D3F30078 0DE2556E
	s_waitcnt lgkmcnt(1)                                       // 0000000091C8: BF8CC17F
	v_mfma_f32_16x16x32_fp8_fp8 v[116:119], a[96:97], v[44:45], v[116:119]// 0000000091CC: D3F30074 0DD25960
	v_mfma_f32_16x16x32_fp8_fp8 v[120:123], a[112:113], v[44:45], v[120:123]// 0000000091D4: D3F30078 0DE25970
	v_mfma_f32_16x16x32_fp8_fp8 v[116:119], a[98:99], v[46:47], v[116:119]// 0000000091DC: D3F30074 0DD25D62
	v_mfma_f32_16x16x32_fp8_fp8 v[120:123], a[114:115], v[46:47], v[120:123]// 0000000091E4: D3F30078 0DE25D72
	s_waitcnt lgkmcnt(0)                                       // 0000000091EC: BF8CC07F
	v_mfma_f32_16x16x32_fp8_fp8 v[116:119], a[100:101], v[48:49], v[116:119]// 0000000091F0: D3F30074 0DD26164
	v_mfma_f32_16x16x32_fp8_fp8 v[120:123], a[116:117], v[48:49], v[120:123]// 0000000091F8: D3F30078 0DE26174
	v_mfma_f32_16x16x32_fp8_fp8 v[116:119], a[102:103], v[50:51], v[116:119]// 000000009200: D3F30074 0DD26566
	v_mfma_f32_16x16x32_fp8_fp8 v[120:123], a[118:119], v[50:51], v[120:123]// 000000009208: D3F30078 0DE26576
	s_load_dword s59, s[42:43], s68                            // 000000009210: C0000ED5 00000044
	s_addk_i32 s64, 0x100                                      // 000000009218: B7400100
	s_cmp_lt_i32 s64, s63                                      // 00000000921C: BF043F40
	s_cbranch_scc0 label_2F92                                  // 000000009220: BF841509
	s_waitcnt vmcnt(10)                                        // 000000009224: BF8C0F7A
	v_mfma_f32_16x16x32_fp8_fp8 v[4:7], a[56:57], a[0:1], 0    // 000000009228: D3F30004 1A020138
	s_add_u32 s12, s86, s69                                    // 000000009230: 800C4556
	s_addc_u32 s13, s87, 0                                     // 000000009234: 820D8057
	v_mfma_f32_16x16x32_fp8_fp8 v[4:7], a[58:59], a[2:3], v[4:7]// 000000009238: D3F30004 1C12053A
	s_add_u32 s16, s88, s70                                    // 000000009240: 80104658
	s_addc_u32 s17, s89, 0                                     // 000000009244: 82118059
	v_mfma_f32_16x16x32_fp8_fp8 v[4:7], a[60:61], a[4:5], v[4:7]// 000000009248: D3F30004 1C12093C
	buffer_load_dwordx4 a[24:27], v229, s[12:15], 0 offen      // 000000009250: E05C1000 808318E5
	v_mfma_f32_16x16x32_fp8_fp8 v[4:7], a[62:63], a[6:7], v[4:7]// 000000009258: D3F30004 1C120D3E
	s_add_u32 s20, s90, s71                                    // 000000009260: 8014475A
	s_addc_u32 s21, s91, 0                                     // 000000009264: 8215805B
	v_mfma_f32_16x16x32_fp8_fp8 v[8:11], a[64:65], a[0:1], 0   // 000000009268: D3F30008 1A020140
	s_add_u32 s24, s92, s71                                    // 000000009270: 8018475C
	s_addc_u32 s25, s93, 0                                     // 000000009274: 8219805D
	v_mfma_f32_16x16x32_fp8_fp8 v[8:11], a[66:67], a[2:3], v[8:11]// 000000009278: D3F30008 1C220542
	s_add_u32 s69, s69, 0x1000                                 // 000000009280: 8045FF45 00001000
	s_add_u32 s70, s70, 0x8000                                 // 000000009288: 8046FF46 00008000
	v_mfma_f32_16x16x32_fp8_fp8 v[8:11], a[68:69], a[4:5], v[8:11]// 000000009290: D3F30008 1C220944
	buffer_load_dwordx4 a[28:31], v230, s[12:15], 0 offen      // 000000009298: E05C1000 80831CE6
	v_mfma_f32_16x16x32_fp8_fp8 v[8:11], a[70:71], a[6:7], v[8:11]// 0000000092A0: D3F30008 1C220D46
	s_add_u32 s71, s71, 0x400                                  // 0000000092A8: 8047FF47 00000400
	v_mfma_f32_16x16x32_fp8_fp8 v[12:15], a[72:73], a[0:1], 0  // 0000000092B0: D3F3000C 1A020148
	v_mfma_f32_16x16x32_fp8_fp8 v[12:15], a[74:75], a[2:3], v[12:15]// 0000000092B8: D3F3000C 1C32054A
	v_mfma_f32_16x16x32_fp8_fp8 v[12:15], a[76:77], a[4:5], v[12:15]// 0000000092C0: D3F3000C 1C32094C
	buffer_load_dwordx4 a[32:35], v229, s[12:15], 0 offen offset:1024// 0000000092C8: E05C1400 808320E5
	v_mfma_f32_16x16x32_fp8_fp8 v[12:15], a[78:79], a[6:7], v[12:15]// 0000000092D0: D3F3000C 1C320D4E
	v_mfma_f32_16x16x32_fp8_fp8 v[16:19], a[80:81], a[0:1], 0  // 0000000092D8: D3F30010 1A020150
	v_mfma_f32_16x16x32_fp8_fp8 v[16:19], a[82:83], a[2:3], v[16:19]// 0000000092E0: D3F30010 1C420552
	v_mfma_f32_16x16x32_fp8_fp8 v[16:19], a[84:85], a[4:5], v[16:19]// 0000000092E8: D3F30010 1C420954
	buffer_load_dwordx4 a[36:39], v230, s[12:15], 0 offen offset:1024// 0000000092F0: E05C1400 808324E6
	v_mfma_f32_16x16x32_fp8_fp8 v[16:19], a[86:87], a[6:7], v[16:19]// 0000000092F8: D3F30010 1C420D56
	v_mfma_f32_16x16x32_fp8_fp8 v[20:23], a[56:57], a[8:9], 0  // 000000009300: D3F30014 1A021138
	v_mfma_f32_16x16x32_fp8_fp8 v[20:23], a[58:59], a[10:11], v[20:23]// 000000009308: D3F30014 1C52153A
	v_mfma_f32_16x16x32_fp8_fp8 v[20:23], a[60:61], a[12:13], v[20:23]// 000000009310: D3F30014 1C52193C
	buffer_load_dwordx4 a[40:43], v229, s[12:15], 0 offen offset:2048// 000000009318: E05C1800 808328E5
	v_mfma_f32_16x16x32_fp8_fp8 v[20:23], a[62:63], a[14:15], v[20:23]// 000000009320: D3F30014 1C521D3E
	v_mfma_f32_16x16x32_fp8_fp8 v[24:27], a[64:65], a[8:9], 0  // 000000009328: D3F30018 1A021140
	v_mfma_f32_16x16x32_fp8_fp8 v[24:27], a[66:67], a[10:11], v[24:27]// 000000009330: D3F30018 1C621542
	v_mfma_f32_16x16x32_fp8_fp8 v[24:27], a[68:69], a[12:13], v[24:27]// 000000009338: D3F30018 1C621944
	buffer_load_dwordx4 a[44:47], v230, s[12:15], 0 offen offset:2048// 000000009340: E05C1800 80832CE6
	v_mfma_f32_16x16x32_fp8_fp8 v[24:27], a[70:71], a[14:15], v[24:27]// 000000009348: D3F30018 1C621D46
	v_mfma_f32_16x16x32_fp8_fp8 v[28:31], a[72:73], a[8:9], 0  // 000000009350: D3F3001C 1A021148
	v_mfma_f32_16x16x32_fp8_fp8 v[28:31], a[74:75], a[10:11], v[28:31]// 000000009358: D3F3001C 1C72154A
	v_mfma_f32_16x16x32_fp8_fp8 v[28:31], a[76:77], a[12:13], v[28:31]// 000000009360: D3F3001C 1C72194C
	buffer_load_dwordx4 a[48:51], v229, s[12:15], 0 offen offset:3072// 000000009368: E05C1C00 808330E5
	v_mfma_f32_16x16x32_fp8_fp8 v[28:31], a[78:79], a[14:15], v[28:31]// 000000009370: D3F3001C 1C721D4E
	v_mfma_f32_16x16x32_fp8_fp8 v[32:35], a[80:81], a[8:9], 0  // 000000009378: D3F30020 1A021150
	v_mfma_f32_16x16x32_fp8_fp8 v[32:35], a[82:83], a[10:11], v[32:35]// 000000009380: D3F30020 1C821552
	v_mfma_f32_16x16x32_fp8_fp8 v[32:35], a[84:85], a[12:13], v[32:35]// 000000009388: D3F30020 1C821954
	buffer_load_dwordx4 a[52:55], v230, s[12:15], 0 offen offset:3072// 000000009390: E05C1C00 808334E6
	v_mfma_f32_16x16x32_fp8_fp8 v[32:35], a[86:87], a[14:15], v[32:35]// 000000009398: D3F30020 1C821D56
	v_mfma_f32_16x16x32_fp8_fp8 v[36:39], a[56:57], a[16:17], 0// 0000000093A0: D3F30024 1A022138
	v_mfma_f32_16x16x32_fp8_fp8 v[36:39], a[58:59], a[18:19], v[36:39]// 0000000093A8: D3F30024 1C92253A
	v_mfma_f32_16x16x32_fp8_fp8 v[36:39], a[60:61], a[20:21], v[36:39]// 0000000093B0: D3F30024 1C92293C
	v_mfma_f32_16x16x32_fp8_fp8 v[36:39], a[62:63], a[22:23], v[36:39]// 0000000093B8: D3F30024 1C922D3E
	v_mfma_f32_16x16x32_fp8_fp8 v[40:43], a[64:65], a[16:17], 0// 0000000093C0: D3F30028 1A022140
	v_mfma_f32_16x16x32_fp8_fp8 v[40:43], a[66:67], a[18:19], v[40:43]// 0000000093C8: D3F30028 1CA22542
	v_mfma_f32_16x16x32_fp8_fp8 v[40:43], a[68:69], a[20:21], v[40:43]// 0000000093D0: D3F30028 1CA22944
	v_mfma_f32_16x16x32_fp8_fp8 v[40:43], a[70:71], a[22:23], v[40:43]// 0000000093D8: D3F30028 1CA22D46
	v_mfma_f32_16x16x32_fp8_fp8 v[44:47], a[72:73], a[16:17], 0// 0000000093E0: D3F3002C 1A022148
	v_mfma_f32_16x16x32_fp8_fp8 v[44:47], a[74:75], a[18:19], v[44:47]// 0000000093E8: D3F3002C 1CB2254A
	v_mfma_f32_16x16x32_fp8_fp8 v[44:47], a[76:77], a[20:21], v[44:47]// 0000000093F0: D3F3002C 1CB2294C
	v_mfma_f32_16x16x32_fp8_fp8 v[44:47], a[78:79], a[22:23], v[44:47]// 0000000093F8: D3F3002C 1CB22D4E
	v_mfma_f32_16x16x32_fp8_fp8 v[48:51], a[80:81], a[16:17], 0// 000000009400: D3F30030 1A022150
	v_mfma_f32_16x16x32_fp8_fp8 v[48:51], a[82:83], a[18:19], v[48:51]// 000000009408: D3F30030 1CC22552
	v_mfma_f32_16x16x32_fp8_fp8 v[48:51], a[84:85], a[20:21], v[48:51]// 000000009410: D3F30030 1CC22954
	v_mfma_f32_16x16x32_fp8_fp8 v[48:51], a[86:87], a[22:23], v[48:51]// 000000009418: D3F30030 1CC22D56
	s_waitcnt vmcnt(16)                                        // 000000009420: BF8C4F70
	v_pk_mul_f32 v[4:5], v[148:149], v[4:5]                    // 000000009424: D3B14004 18020994
	v_pk_mul_f32 v[6:7], v[148:149], v[6:7]                    // 00000000942C: D3B14006 18020D94
	v_mul_f32_dpp v4, v155, v4 row_newbcast:0 row_mask:0xf bank_mask:0xf// 000000009434: 0A0808FA FF01509B
	v_mul_f32_dpp v5, v155, v5 row_newbcast:1 row_mask:0xf bank_mask:0xf// 00000000943C: 0A0A0AFA FF01519B
	v_mul_f32_dpp v6, v155, v6 row_newbcast:2 row_mask:0xf bank_mask:0xf// 000000009444: 0A0C0CFA FF01529B
	v_mul_f32_dpp v7, v155, v7 row_newbcast:3 row_mask:0xf bank_mask:0xf// 00000000944C: 0A0E0EFA FF01539B
	v_pk_mul_f32 v[8:9], v[148:149], v[8:9]                    // 000000009454: D3B14008 18021194
	v_pk_mul_f32 v[10:11], v[148:149], v[10:11]                // 00000000945C: D3B1400A 18021594
	v_mul_f32_dpp v8, v155, v8 row_newbcast:4 row_mask:0xf bank_mask:0xf// 000000009464: 0A1010FA FF01549B
	v_mul_f32_dpp v9, v155, v9 row_newbcast:5 row_mask:0xf bank_mask:0xf// 00000000946C: 0A1212FA FF01559B
	v_mul_f32_dpp v10, v155, v10 row_newbcast:6 row_mask:0xf bank_mask:0xf// 000000009474: 0A1414FA FF01569B
	v_mul_f32_dpp v11, v155, v11 row_newbcast:7 row_mask:0xf bank_mask:0xf// 00000000947C: 0A1616FA FF01579B
	v_pk_mul_f32 v[12:13], v[148:149], v[12:13]                // 000000009484: D3B1400C 18021994
	v_pk_mul_f32 v[14:15], v[148:149], v[14:15]                // 00000000948C: D3B1400E 18021D94
	v_mul_f32_dpp v12, v155, v12 row_newbcast:8 row_mask:0xf bank_mask:0xf// 000000009494: 0A1818FA FF01589B
	v_mul_f32_dpp v13, v155, v13 row_newbcast:9 row_mask:0xf bank_mask:0xf// 00000000949C: 0A1A1AFA FF01599B
	v_mul_f32_dpp v14, v155, v14 row_newbcast:10 row_mask:0xf bank_mask:0xf// 0000000094A4: 0A1C1CFA FF015A9B
	v_mul_f32_dpp v15, v155, v15 row_newbcast:11 row_mask:0xf bank_mask:0xf// 0000000094AC: 0A1E1EFA FF015B9B
	v_pk_mul_f32 v[16:17], v[148:149], v[16:17]                // 0000000094B4: D3B14010 18022194
	v_pk_mul_f32 v[18:19], v[148:149], v[18:19]                // 0000000094BC: D3B14012 18022594
	v_mul_f32_dpp v16, v155, v16 row_newbcast:12 row_mask:0xf bank_mask:0xf// 0000000094C4: 0A2020FA FF015C9B
	v_mul_f32_dpp v17, v155, v17 row_newbcast:13 row_mask:0xf bank_mask:0xf// 0000000094CC: 0A2222FA FF015D9B
	v_mul_f32_dpp v18, v155, v18 row_newbcast:14 row_mask:0xf bank_mask:0xf// 0000000094D4: 0A2424FA FF015E9B
	v_mul_f32_dpp v19, v155, v19 row_newbcast:15 row_mask:0xf bank_mask:0xf// 0000000094DC: 0A2626FA FF015F9B
	v_pk_mul_f32 v[20:21], v[150:151], v[20:21]                // 0000000094E4: D3B14014 18022996
	v_pk_mul_f32 v[22:23], v[150:151], v[22:23]                // 0000000094EC: D3B14016 18022D96
	v_mul_f32_dpp v20, v155, v20 row_newbcast:0 row_mask:0xf bank_mask:0xf// 0000000094F4: 0A2828FA FF01509B
	v_mul_f32_dpp v21, v155, v21 row_newbcast:1 row_mask:0xf bank_mask:0xf// 0000000094FC: 0A2A2AFA FF01519B
	v_mul_f32_dpp v22, v155, v22 row_newbcast:2 row_mask:0xf bank_mask:0xf// 000000009504: 0A2C2CFA FF01529B
	v_mul_f32_dpp v23, v155, v23 row_newbcast:3 row_mask:0xf bank_mask:0xf// 00000000950C: 0A2E2EFA FF01539B
	v_pk_mul_f32 v[24:25], v[150:151], v[24:25]                // 000000009514: D3B14018 18023196
	v_pk_mul_f32 v[26:27], v[150:151], v[26:27]                // 00000000951C: D3B1401A 18023596
	v_mul_f32_dpp v24, v155, v24 row_newbcast:4 row_mask:0xf bank_mask:0xf// 000000009524: 0A3030FA FF01549B
	v_mul_f32_dpp v25, v155, v25 row_newbcast:5 row_mask:0xf bank_mask:0xf// 00000000952C: 0A3232FA FF01559B
	v_mul_f32_dpp v26, v155, v26 row_newbcast:6 row_mask:0xf bank_mask:0xf// 000000009534: 0A3434FA FF01569B
	v_mul_f32_dpp v27, v155, v27 row_newbcast:7 row_mask:0xf bank_mask:0xf// 00000000953C: 0A3636FA FF01579B
	v_pk_mul_f32 v[28:29], v[150:151], v[28:29]                // 000000009544: D3B1401C 18023996
	v_pk_mul_f32 v[30:31], v[150:151], v[30:31]                // 00000000954C: D3B1401E 18023D96
	v_mul_f32_dpp v28, v155, v28 row_newbcast:8 row_mask:0xf bank_mask:0xf// 000000009554: 0A3838FA FF01589B
	v_mul_f32_dpp v29, v155, v29 row_newbcast:9 row_mask:0xf bank_mask:0xf// 00000000955C: 0A3A3AFA FF01599B
	v_mul_f32_dpp v30, v155, v30 row_newbcast:10 row_mask:0xf bank_mask:0xf// 000000009564: 0A3C3CFA FF015A9B
	v_mul_f32_dpp v31, v155, v31 row_newbcast:11 row_mask:0xf bank_mask:0xf// 00000000956C: 0A3E3EFA FF015B9B
	v_pk_mul_f32 v[32:33], v[150:151], v[32:33]                // 000000009574: D3B14020 18024196
	v_pk_mul_f32 v[34:35], v[150:151], v[34:35]                // 00000000957C: D3B14022 18024596
	v_mul_f32_dpp v32, v155, v32 row_newbcast:12 row_mask:0xf bank_mask:0xf// 000000009584: 0A4040FA FF015C9B
	v_mul_f32_dpp v33, v155, v33 row_newbcast:13 row_mask:0xf bank_mask:0xf// 00000000958C: 0A4242FA FF015D9B
	v_mul_f32_dpp v34, v155, v34 row_newbcast:14 row_mask:0xf bank_mask:0xf// 000000009594: 0A4444FA FF015E9B
	v_mul_f32_dpp v35, v155, v35 row_newbcast:15 row_mask:0xf bank_mask:0xf// 00000000959C: 0A4646FA FF015F9B
	v_pk_mul_f32 v[36:37], v[152:153], v[36:37]                // 0000000095A4: D3B14024 18024998
	v_pk_mul_f32 v[38:39], v[152:153], v[38:39]                // 0000000095AC: D3B14026 18024D98
	v_mul_f32_dpp v36, v155, v36 row_newbcast:0 row_mask:0xf bank_mask:0xf// 0000000095B4: 0A4848FA FF01509B
	v_mul_f32_dpp v37, v155, v37 row_newbcast:1 row_mask:0xf bank_mask:0xf// 0000000095BC: 0A4A4AFA FF01519B
	v_mul_f32_dpp v38, v155, v38 row_newbcast:2 row_mask:0xf bank_mask:0xf// 0000000095C4: 0A4C4CFA FF01529B
	v_mul_f32_dpp v39, v155, v39 row_newbcast:3 row_mask:0xf bank_mask:0xf// 0000000095CC: 0A4E4EFA FF01539B
	v_pk_mul_f32 v[40:41], v[152:153], v[40:41]                // 0000000095D4: D3B14028 18025198
	v_pk_mul_f32 v[42:43], v[152:153], v[42:43]                // 0000000095DC: D3B1402A 18025598
	v_mul_f32_dpp v40, v155, v40 row_newbcast:4 row_mask:0xf bank_mask:0xf// 0000000095E4: 0A5050FA FF01549B
	v_mul_f32_dpp v41, v155, v41 row_newbcast:5 row_mask:0xf bank_mask:0xf// 0000000095EC: 0A5252FA FF01559B
	v_mul_f32_dpp v42, v155, v42 row_newbcast:6 row_mask:0xf bank_mask:0xf// 0000000095F4: 0A5454FA FF01569B
	v_mul_f32_dpp v43, v155, v43 row_newbcast:7 row_mask:0xf bank_mask:0xf// 0000000095FC: 0A5656FA FF01579B
	v_pk_mul_f32 v[44:45], v[152:153], v[44:45]                // 000000009604: D3B1402C 18025998
	v_pk_mul_f32 v[46:47], v[152:153], v[46:47]                // 00000000960C: D3B1402E 18025D98
	v_mul_f32_dpp v44, v155, v44 row_newbcast:8 row_mask:0xf bank_mask:0xf// 000000009614: 0A5858FA FF01589B
	v_mul_f32_dpp v45, v155, v45 row_newbcast:9 row_mask:0xf bank_mask:0xf// 00000000961C: 0A5A5AFA FF01599B
	v_mul_f32_dpp v46, v155, v46 row_newbcast:10 row_mask:0xf bank_mask:0xf// 000000009624: 0A5C5CFA FF015A9B
	v_mul_f32_dpp v47, v155, v47 row_newbcast:11 row_mask:0xf bank_mask:0xf// 00000000962C: 0A5E5EFA FF015B9B
	v_pk_mul_f32 v[48:49], v[152:153], v[48:49]                // 000000009634: D3B14030 18026198
	v_pk_mul_f32 v[50:51], v[152:153], v[50:51]                // 00000000963C: D3B14032 18026598
	v_mul_f32_dpp v48, v155, v48 row_newbcast:12 row_mask:0xf bank_mask:0xf// 000000009644: 0A6060FA FF015C9B
	v_mul_f32_dpp v49, v155, v49 row_newbcast:13 row_mask:0xf bank_mask:0xf// 00000000964C: 0A6262FA FF015D9B
	v_mul_f32_dpp v50, v155, v50 row_newbcast:14 row_mask:0xf bank_mask:0xf// 000000009654: 0A6464FA FF015E9B
	v_mul_f32_dpp v51, v155, v51 row_newbcast:15 row_mask:0xf bank_mask:0xf// 00000000965C: 0A6666FA FF015F9B
	v_mov_b32_e32 v182, v4                                     // 000000009664: 7F6C0304
	v_max3_f32 v182, v4, v5, v182                              // 000000009668: D1D300B6 06DA0B04
	v_max3_f32 v182, v6, v7, v182                              // 000000009670: D1D300B6 06DA0F06
	v_max3_f32 v182, v8, v9, v182                              // 000000009678: D1D300B6 06DA1308
	v_max3_f32 v182, v10, v11, v182                            // 000000009680: D1D300B6 06DA170A
	v_max3_f32 v182, v12, v13, v182                            // 000000009688: D1D300B6 06DA1B0C
	v_max3_f32 v182, v14, v15, v182                            // 000000009690: D1D300B6 06DA1F0E
	v_max3_f32 v182, v16, v17, v182                            // 000000009698: D1D300B6 06DA2310
	v_max3_f32 v182, v18, v19, v182                            // 0000000096A0: D1D300B6 06DA2712
	v_mov_b32_e32 v183, v20                                    // 0000000096A8: 7F6E0314
	v_max3_f32 v183, v20, v21, v183                            // 0000000096AC: D1D300B7 06DE2B14
	v_max3_f32 v183, v22, v23, v183                            // 0000000096B4: D1D300B7 06DE2F16
	v_max3_f32 v183, v24, v25, v183                            // 0000000096BC: D1D300B7 06DE3318
	v_max3_f32 v183, v26, v27, v183                            // 0000000096C4: D1D300B7 06DE371A
	v_max3_f32 v183, v28, v29, v183                            // 0000000096CC: D1D300B7 06DE3B1C
	v_max3_f32 v183, v30, v31, v183                            // 0000000096D4: D1D300B7 06DE3F1E
	v_max3_f32 v183, v32, v33, v183                            // 0000000096DC: D1D300B7 06DE4320
	v_max3_f32 v183, v34, v35, v183                            // 0000000096E4: D1D300B7 06DE4722
	v_mov_b32_e32 v184, v36                                    // 0000000096EC: 7F700324
	v_max3_f32 v184, v36, v37, v184                            // 0000000096F0: D1D300B8 06E24B24
	v_max3_f32 v184, v38, v39, v184                            // 0000000096F8: D1D300B8 06E24F26
	v_max3_f32 v184, v40, v41, v184                            // 000000009700: D1D300B8 06E25328
	v_max3_f32 v184, v42, v43, v184                            // 000000009708: D1D300B8 06E2572A
	v_max3_f32 v184, v44, v45, v184                            // 000000009710: D1D300B8 06E25B2C
	v_max3_f32 v184, v46, v47, v184                            // 000000009718: D1D300B8 06E25F2E
	v_max3_f32 v184, v48, v49, v184                            // 000000009720: D1D300B8 06E26330
	v_max3_f32 v184, v50, v51, v184                            // 000000009728: D1D300B8 06E26732
	v_pk_mul_f32 v[124:125], v[170:171], v[124:125]            // 000000009730: D3B1407C 1802F9AA
	v_pk_mul_f32 v[126:127], v[170:171], v[126:127]            // 000000009738: D3B1407E 1802FDAA
	v_pk_mul_f32 v[128:129], v[170:171], v[128:129]            // 000000009740: D3B14080 180301AA
	v_pk_mul_f32 v[130:131], v[170:171], v[130:131]            // 000000009748: D3B14082 180305AA
	v_pk_mul_f32 v[132:133], v[172:173], v[132:133]            // 000000009750: D3B14084 180309AC
	v_pk_mul_f32 v[134:135], v[172:173], v[134:135]            // 000000009758: D3B14086 18030DAC
	v_pk_mul_f32 v[136:137], v[172:173], v[136:137]            // 000000009760: D3B14088 180311AC
	v_pk_mul_f32 v[138:139], v[172:173], v[138:139]            // 000000009768: D3B1408A 180315AC
	v_pk_mul_f32 v[140:141], v[174:175], v[140:141]            // 000000009770: D3B1408C 180319AE
	v_pk_mul_f32 v[142:143], v[174:175], v[142:143]            // 000000009778: D3B1408E 18031DAE
	v_pk_mul_f32 v[144:145], v[174:175], v[144:145]            // 000000009780: D3B14090 180321AE
	v_pk_mul_f32 v[146:147], v[174:175], v[146:147]            // 000000009788: D3B14092 180325AE
	ds_bpermute_b32 v188, v208, v182                           // 000000009790: D87E0000 BC00B6D0
	ds_bpermute_b32 v189, v209, v182                           // 000000009798: D87E0000 BD00B6D1
	ds_bpermute_b32 v190, v210, v182                           // 0000000097A0: D87E0000 BE00B6D2
	ds_bpermute_b32 v191, v208, v183                           // 0000000097A8: D87E0000 BF00B7D0
	ds_bpermute_b32 v192, v209, v183                           // 0000000097B0: D87E0000 C000B7D1
	ds_bpermute_b32 v193, v210, v183                           // 0000000097B8: D87E0000 C100B7D2
	ds_bpermute_b32 v194, v208, v184                           // 0000000097C0: D87E0000 C200B8D0
	ds_bpermute_b32 v195, v209, v184                           // 0000000097C8: D87E0000 C300B8D1
	ds_bpermute_b32 v196, v210, v184                           // 0000000097D0: D87E0000 C400B8D2
	s_waitcnt lgkmcnt(6)                                       // 0000000097D8: BF8CC67F
	v_max3_f32 v182, v188, v189, v182                          // 0000000097DC: D1D300B6 06DB7BBC
	v_max_f32_e32 v182, v190, v182                             // 0000000097E4: 176D6DBE
	s_waitcnt lgkmcnt(3)                                       // 0000000097E8: BF8CC37F
	v_max3_f32 v183, v191, v192, v183                          // 0000000097EC: D1D300B7 06DF81BF
	v_max_f32_e32 v183, v193, v183                             // 0000000097F4: 176F6FC1
	s_waitcnt lgkmcnt(0)                                       // 0000000097F8: BF8CC07F
	v_max3_f32 v184, v194, v195, v184                          // 0000000097FC: D1D300B8 06E387C2
	v_max_f32_e32 v184, v196, v184                             // 000000009804: 177171C4
	ds_write_b128 v249, v[182:185]                             // 000000009808: D9BE0000 0000B6F9
	s_waitcnt lgkmcnt(0)                                       // 000000009810: BF8CC07F
	s_barrier                                                  // 000000009814: BF8A0000
	v_pk_mul_f32 v[100:101], v[158:159], v[100:101]            // 000000009818: D3B14064 1802C99E
	v_pk_mul_f32 v[102:103], v[158:159], v[102:103]            // 000000009820: D3B14066 1802CD9E
	v_pk_mul_f32 v[104:105], v[158:159], v[104:105]            // 000000009828: D3B14068 1802D19E
	v_pk_mul_f32 v[106:107], v[158:159], v[106:107]            // 000000009830: D3B1406A 1802D59E
	v_pk_mul_f32 v[108:109], v[160:161], v[108:109]            // 000000009838: D3B1406C 1802D9A0
	v_pk_mul_f32 v[110:111], v[160:161], v[110:111]            // 000000009840: D3B1406E 1802DDA0
	v_pk_mul_f32 v[112:113], v[160:161], v[112:113]            // 000000009848: D3B14070 1802E1A0
	v_pk_mul_f32 v[114:115], v[160:161], v[114:115]            // 000000009850: D3B14072 1802E5A0
	v_pk_mul_f32 v[116:117], v[162:163], v[116:117]            // 000000009858: D3B14074 1802E9A2
	v_pk_mul_f32 v[118:119], v[162:163], v[118:119]            // 000000009860: D3B14076 1802EDA2
	v_pk_mul_f32 v[120:121], v[162:163], v[120:121]            // 000000009868: D3B14078 1802F1A2
	v_pk_mul_f32 v[122:123], v[162:163], v[122:123]            // 000000009870: D3B1407A 1802F5A2
	ds_read_b128 v[188:191], v250                              // 000000009878: D9FE0000 BC0000FA
	ds_read_b128 v[192:195], v250 offset:256                   // 000000009880: D9FE0100 C00000FA
	ds_read_b128 v[196:199], v250 offset:512                   // 000000009888: D9FE0200 C40000FA
	ds_read_b128 v[200:203], v250 offset:768                   // 000000009890: D9FE0300 C80000FA
	s_waitcnt lgkmcnt(0)                                       // 000000009898: BF8CC07F
	v_max3_f32 v182, v188, v192, v182                          // 00000000989C: D1D300B6 06DB81BC
	v_max3_f32 v183, v189, v193, v183                          // 0000000098A4: D1D300B7 06DF83BD
	v_max3_f32 v184, v190, v194, v184                          // 0000000098AC: D1D300B8 06E385BE
	v_max3_f32 v182, v196, v200, v182                          // 0000000098B4: D1D300B6 06DB91C4
	v_max3_f32 v183, v197, v201, v183                          // 0000000098BC: D1D300B7 06DF93C5
	v_max3_f32 v184, v198, v202, v184                          // 0000000098C4: D1D300B8 06E395C6
	v_max_f32_e32 v167, v182, v164                             // 0000000098CC: 174F49B6
	v_mul_f32_e64 v204, -s46, v167                             // 0000000098D0: D10500CC 20034E2E
	v_mov_b32_e32 v205, v204                                   // 0000000098D8: 7F9A03CC
	v_pk_fma_f32 v[4:5], v[4:5], s[46:47], v[204:205]          // 0000000098DC: D3B04004 1F305D04
	v_pk_fma_f32 v[6:7], v[6:7], s[46:47], v[204:205]          // 0000000098E4: D3B04006 1F305D06
	v_exp_f32_e32 v4, v4                                       // 0000000098EC: 7E084104
	v_exp_f32_e32 v5, v5                                       // 0000000098F0: 7E0A4105
	v_exp_f32_e32 v6, v6                                       // 0000000098F4: 7E0C4106
	v_exp_f32_e32 v7, v7                                       // 0000000098F8: 7E0E4107
	v_pk_fma_f32 v[8:9], v[8:9], s[46:47], v[204:205]          // 0000000098FC: D3B04008 1F305D08
	v_pk_fma_f32 v[10:11], v[10:11], s[46:47], v[204:205]      // 000000009904: D3B0400A 1F305D0A
	v_exp_f32_e32 v8, v8                                       // 00000000990C: 7E104108
	v_exp_f32_e32 v9, v9                                       // 000000009910: 7E124109
	v_exp_f32_e32 v10, v10                                     // 000000009914: 7E14410A
	v_exp_f32_e32 v11, v11                                     // 000000009918: 7E16410B
	v_pk_fma_f32 v[12:13], v[12:13], s[46:47], v[204:205]      // 00000000991C: D3B0400C 1F305D0C
	v_pk_fma_f32 v[14:15], v[14:15], s[46:47], v[204:205]      // 000000009924: D3B0400E 1F305D0E
	v_exp_f32_e32 v12, v12                                     // 00000000992C: 7E18410C
	v_exp_f32_e32 v13, v13                                     // 000000009930: 7E1A410D
	v_exp_f32_e32 v14, v14                                     // 000000009934: 7E1C410E
	v_exp_f32_e32 v15, v15                                     // 000000009938: 7E1E410F
	v_pk_fma_f32 v[16:17], v[16:17], s[46:47], v[204:205]      // 00000000993C: D3B04010 1F305D10
	v_pk_fma_f32 v[18:19], v[18:19], s[46:47], v[204:205]      // 000000009944: D3B04012 1F305D12
	v_exp_f32_e32 v16, v16                                     // 00000000994C: 7E204110
	v_exp_f32_e32 v17, v17                                     // 000000009950: 7E224111
	v_exp_f32_e32 v18, v18                                     // 000000009954: 7E244112
	v_exp_f32_e32 v19, v19                                     // 000000009958: 7E264113
	v_max_f32_e32 v168, v183, v165                             // 00000000995C: 17514BB7
	v_mul_f32_e64 v204, -s46, v168                             // 000000009960: D10500CC 2003502E
	v_mov_b32_e32 v205, v204                                   // 000000009968: 7F9A03CC
	v_pk_fma_f32 v[20:21], v[20:21], s[46:47], v[204:205]      // 00000000996C: D3B04014 1F305D14
	v_pk_fma_f32 v[22:23], v[22:23], s[46:47], v[204:205]      // 000000009974: D3B04016 1F305D16
	v_exp_f32_e32 v20, v20                                     // 00000000997C: 7E284114
	v_exp_f32_e32 v21, v21                                     // 000000009980: 7E2A4115
	v_exp_f32_e32 v22, v22                                     // 000000009984: 7E2C4116
	v_exp_f32_e32 v23, v23                                     // 000000009988: 7E2E4117
	v_pk_fma_f32 v[24:25], v[24:25], s[46:47], v[204:205]      // 00000000998C: D3B04018 1F305D18
	v_pk_fma_f32 v[26:27], v[26:27], s[46:47], v[204:205]      // 000000009994: D3B0401A 1F305D1A
	v_exp_f32_e32 v24, v24                                     // 00000000999C: 7E304118
	v_exp_f32_e32 v25, v25                                     // 0000000099A0: 7E324119
	v_exp_f32_e32 v26, v26                                     // 0000000099A4: 7E34411A
	v_exp_f32_e32 v27, v27                                     // 0000000099A8: 7E36411B
	v_pk_fma_f32 v[28:29], v[28:29], s[46:47], v[204:205]      // 0000000099AC: D3B0401C 1F305D1C
	v_pk_fma_f32 v[30:31], v[30:31], s[46:47], v[204:205]      // 0000000099B4: D3B0401E 1F305D1E
	v_exp_f32_e32 v28, v28                                     // 0000000099BC: 7E38411C
	v_exp_f32_e32 v29, v29                                     // 0000000099C0: 7E3A411D
	v_exp_f32_e32 v30, v30                                     // 0000000099C4: 7E3C411E
	v_exp_f32_e32 v31, v31                                     // 0000000099C8: 7E3E411F
	v_pk_fma_f32 v[32:33], v[32:33], s[46:47], v[204:205]      // 0000000099CC: D3B04020 1F305D20
	v_pk_fma_f32 v[34:35], v[34:35], s[46:47], v[204:205]      // 0000000099D4: D3B04022 1F305D22
	v_exp_f32_e32 v32, v32                                     // 0000000099DC: 7E404120
	v_exp_f32_e32 v33, v33                                     // 0000000099E0: 7E424121
	v_exp_f32_e32 v34, v34                                     // 0000000099E4: 7E444122
	v_exp_f32_e32 v35, v35                                     // 0000000099E8: 7E464123
	v_max_f32_e32 v169, v184, v166                             // 0000000099EC: 17534DB8
	v_mul_f32_e64 v204, -s46, v169                             // 0000000099F0: D10500CC 2003522E
	v_mov_b32_e32 v205, v204                                   // 0000000099F8: 7F9A03CC
	v_pk_fma_f32 v[36:37], v[36:37], s[46:47], v[204:205]      // 0000000099FC: D3B04024 1F305D24
	v_pk_fma_f32 v[38:39], v[38:39], s[46:47], v[204:205]      // 000000009A04: D3B04026 1F305D26
	v_exp_f32_e32 v36, v36                                     // 000000009A0C: 7E484124
	v_exp_f32_e32 v37, v37                                     // 000000009A10: 7E4A4125
	v_exp_f32_e32 v38, v38                                     // 000000009A14: 7E4C4126
	v_exp_f32_e32 v39, v39                                     // 000000009A18: 7E4E4127
	v_pk_fma_f32 v[40:41], v[40:41], s[46:47], v[204:205]      // 000000009A1C: D3B04028 1F305D28
	v_pk_fma_f32 v[42:43], v[42:43], s[46:47], v[204:205]      // 000000009A24: D3B0402A 1F305D2A
	v_exp_f32_e32 v40, v40                                     // 000000009A2C: 7E504128
	v_exp_f32_e32 v41, v41                                     // 000000009A30: 7E524129
	v_exp_f32_e32 v42, v42                                     // 000000009A34: 7E54412A
	v_exp_f32_e32 v43, v43                                     // 000000009A38: 7E56412B
	v_pk_fma_f32 v[44:45], v[44:45], s[46:47], v[204:205]      // 000000009A3C: D3B0402C 1F305D2C
	v_pk_fma_f32 v[46:47], v[46:47], s[46:47], v[204:205]      // 000000009A44: D3B0402E 1F305D2E
	v_exp_f32_e32 v44, v44                                     // 000000009A4C: 7E58412C
	v_exp_f32_e32 v45, v45                                     // 000000009A50: 7E5A412D
	v_exp_f32_e32 v46, v46                                     // 000000009A54: 7E5C412E
	v_exp_f32_e32 v47, v47                                     // 000000009A58: 7E5E412F
	v_pk_fma_f32 v[48:49], v[48:49], s[46:47], v[204:205]      // 000000009A5C: D3B04030 1F305D30
	v_pk_fma_f32 v[50:51], v[50:51], s[46:47], v[204:205]      // 000000009A64: D3B04032 1F305D32
	v_exp_f32_e32 v48, v48                                     // 000000009A6C: 7E604130
	v_exp_f32_e32 v49, v49                                     // 000000009A70: 7E624131
	v_exp_f32_e32 v50, v50                                     // 000000009A74: 7E644132
	v_exp_f32_e32 v51, v51                                     // 000000009A78: 7E664133
	v_mul_f32_dpp v52, v157, v4 row_newbcast:0 row_mask:0xf bank_mask:0xf// 000000009A7C: 0A6808FA FF01509D
	v_mul_f32_dpp v53, v157, v5 row_newbcast:1 row_mask:0xf bank_mask:0xf// 000000009A84: 0A6A0AFA FF01519D
	v_mul_f32_dpp v54, v157, v6 row_newbcast:2 row_mask:0xf bank_mask:0xf// 000000009A8C: 0A6C0CFA FF01529D
	v_mul_f32_dpp v55, v157, v7 row_newbcast:3 row_mask:0xf bank_mask:0xf// 000000009A94: 0A6E0EFA FF01539D
	v_mul_f32_dpp v56, v157, v8 row_newbcast:4 row_mask:0xf bank_mask:0xf// 000000009A9C: 0A7010FA FF01549D
	v_mul_f32_dpp v57, v157, v9 row_newbcast:5 row_mask:0xf bank_mask:0xf// 000000009AA4: 0A7212FA FF01559D
	v_mul_f32_dpp v58, v157, v10 row_newbcast:6 row_mask:0xf bank_mask:0xf// 000000009AAC: 0A7414FA FF01569D
	v_mul_f32_dpp v59, v157, v11 row_newbcast:7 row_mask:0xf bank_mask:0xf// 000000009AB4: 0A7616FA FF01579D
	v_mul_f32_dpp v60, v157, v12 row_newbcast:8 row_mask:0xf bank_mask:0xf// 000000009ABC: 0A7818FA FF01589D
	v_mul_f32_dpp v61, v157, v13 row_newbcast:9 row_mask:0xf bank_mask:0xf// 000000009AC4: 0A7A1AFA FF01599D
	v_mul_f32_dpp v62, v157, v14 row_newbcast:10 row_mask:0xf bank_mask:0xf// 000000009ACC: 0A7C1CFA FF015A9D
	v_mul_f32_dpp v63, v157, v15 row_newbcast:11 row_mask:0xf bank_mask:0xf// 000000009AD4: 0A7E1EFA FF015B9D
	v_mul_f32_dpp v64, v157, v16 row_newbcast:12 row_mask:0xf bank_mask:0xf// 000000009ADC: 0A8020FA FF015C9D
	v_mul_f32_dpp v65, v157, v17 row_newbcast:13 row_mask:0xf bank_mask:0xf// 000000009AE4: 0A8222FA FF015D9D
	v_mul_f32_dpp v66, v157, v18 row_newbcast:14 row_mask:0xf bank_mask:0xf// 000000009AEC: 0A8424FA FF015E9D
	v_mul_f32_dpp v67, v157, v19 row_newbcast:15 row_mask:0xf bank_mask:0xf// 000000009AF4: 0A8626FA FF015F9D
	v_mul_f32_dpp v68, v157, v20 row_newbcast:0 row_mask:0xf bank_mask:0xf// 000000009AFC: 0A8828FA FF01509D
	v_mul_f32_dpp v69, v157, v21 row_newbcast:1 row_mask:0xf bank_mask:0xf// 000000009B04: 0A8A2AFA FF01519D
	v_mul_f32_dpp v70, v157, v22 row_newbcast:2 row_mask:0xf bank_mask:0xf// 000000009B0C: 0A8C2CFA FF01529D
	v_mul_f32_dpp v71, v157, v23 row_newbcast:3 row_mask:0xf bank_mask:0xf// 000000009B14: 0A8E2EFA FF01539D
	v_mul_f32_dpp v72, v157, v24 row_newbcast:4 row_mask:0xf bank_mask:0xf// 000000009B1C: 0A9030FA FF01549D
	v_mul_f32_dpp v73, v157, v25 row_newbcast:5 row_mask:0xf bank_mask:0xf// 000000009B24: 0A9232FA FF01559D
	v_mul_f32_dpp v74, v157, v26 row_newbcast:6 row_mask:0xf bank_mask:0xf// 000000009B2C: 0A9434FA FF01569D
	v_mul_f32_dpp v75, v157, v27 row_newbcast:7 row_mask:0xf bank_mask:0xf// 000000009B34: 0A9636FA FF01579D
	v_mul_f32_dpp v76, v157, v28 row_newbcast:8 row_mask:0xf bank_mask:0xf// 000000009B3C: 0A9838FA FF01589D
	v_mul_f32_dpp v77, v157, v29 row_newbcast:9 row_mask:0xf bank_mask:0xf// 000000009B44: 0A9A3AFA FF01599D
	v_mul_f32_dpp v78, v157, v30 row_newbcast:10 row_mask:0xf bank_mask:0xf// 000000009B4C: 0A9C3CFA FF015A9D
	v_mul_f32_dpp v79, v157, v31 row_newbcast:11 row_mask:0xf bank_mask:0xf// 000000009B54: 0A9E3EFA FF015B9D
	v_mul_f32_dpp v80, v157, v32 row_newbcast:12 row_mask:0xf bank_mask:0xf// 000000009B5C: 0AA040FA FF015C9D
	v_mul_f32_dpp v81, v157, v33 row_newbcast:13 row_mask:0xf bank_mask:0xf// 000000009B64: 0AA242FA FF015D9D
	v_mul_f32_dpp v82, v157, v34 row_newbcast:14 row_mask:0xf bank_mask:0xf// 000000009B6C: 0AA444FA FF015E9D
	v_mul_f32_dpp v83, v157, v35 row_newbcast:15 row_mask:0xf bank_mask:0xf// 000000009B74: 0AA646FA FF015F9D
	v_mul_f32_dpp v84, v157, v36 row_newbcast:0 row_mask:0xf bank_mask:0xf// 000000009B7C: 0AA848FA FF01509D
	v_mul_f32_dpp v85, v157, v37 row_newbcast:1 row_mask:0xf bank_mask:0xf// 000000009B84: 0AAA4AFA FF01519D
	v_mul_f32_dpp v86, v157, v38 row_newbcast:2 row_mask:0xf bank_mask:0xf// 000000009B8C: 0AAC4CFA FF01529D
	v_mul_f32_dpp v87, v157, v39 row_newbcast:3 row_mask:0xf bank_mask:0xf// 000000009B94: 0AAE4EFA FF01539D
	v_mul_f32_dpp v88, v157, v40 row_newbcast:4 row_mask:0xf bank_mask:0xf// 000000009B9C: 0AB050FA FF01549D
	v_mul_f32_dpp v89, v157, v41 row_newbcast:5 row_mask:0xf bank_mask:0xf// 000000009BA4: 0AB252FA FF01559D
	v_mul_f32_dpp v90, v157, v42 row_newbcast:6 row_mask:0xf bank_mask:0xf// 000000009BAC: 0AB454FA FF01569D
	v_mul_f32_dpp v91, v157, v43 row_newbcast:7 row_mask:0xf bank_mask:0xf// 000000009BB4: 0AB656FA FF01579D
	v_mul_f32_dpp v92, v157, v44 row_newbcast:8 row_mask:0xf bank_mask:0xf// 000000009BBC: 0AB858FA FF01589D
	v_mul_f32_dpp v93, v157, v45 row_newbcast:9 row_mask:0xf bank_mask:0xf// 000000009BC4: 0ABA5AFA FF01599D
	v_mul_f32_dpp v94, v157, v46 row_newbcast:10 row_mask:0xf bank_mask:0xf// 000000009BCC: 0ABC5CFA FF015A9D
	v_mul_f32_dpp v95, v157, v47 row_newbcast:11 row_mask:0xf bank_mask:0xf// 000000009BD4: 0ABE5EFA FF015B9D
	v_mul_f32_dpp v96, v157, v48 row_newbcast:12 row_mask:0xf bank_mask:0xf// 000000009BDC: 0AC060FA FF015C9D
	v_mul_f32_dpp v97, v157, v49 row_newbcast:13 row_mask:0xf bank_mask:0xf// 000000009BE4: 0AC262FA FF015D9D
	v_mul_f32_dpp v98, v157, v50 row_newbcast:14 row_mask:0xf bank_mask:0xf// 000000009BEC: 0AC464FA FF015E9D
	v_mul_f32_dpp v99, v157, v51 row_newbcast:15 row_mask:0xf bank_mask:0xf// 000000009BF4: 0AC666FA FF015F9D
	v_mov_b32_e32 v182, 0x358637bd                             // 000000009BFC: 7F6C02FF 358637BD
	v_max3_f32 v182, |v52|, |v53|, v182                        // 000000009C04: D1D303B6 06DA6B34
	v_max3_f32 v182, |v54|, |v55|, v182                        // 000000009C0C: D1D303B6 06DA6F36
	v_max3_f32 v182, |v56|, |v57|, v182                        // 000000009C14: D1D303B6 06DA7338
	v_max3_f32 v182, |v58|, |v59|, v182                        // 000000009C1C: D1D303B6 06DA773A
	v_max3_f32 v182, |v60|, |v61|, v182                        // 000000009C24: D1D303B6 06DA7B3C
	v_max3_f32 v182, |v62|, |v63|, v182                        // 000000009C2C: D1D303B6 06DA7F3E
	v_max3_f32 v182, |v64|, |v65|, v182                        // 000000009C34: D1D303B6 06DA8340
	v_max3_f32 v182, |v66|, |v67|, v182                        // 000000009C3C: D1D303B6 06DA8742
	v_mov_b32_e32 v183, 0x358637bd                             // 000000009C44: 7F6E02FF 358637BD
	v_max3_f32 v183, |v68|, |v69|, v183                        // 000000009C4C: D1D303B7 06DE8B44
	v_max3_f32 v183, |v70|, |v71|, v183                        // 000000009C54: D1D303B7 06DE8F46
	v_max3_f32 v183, |v72|, |v73|, v183                        // 000000009C5C: D1D303B7 06DE9348
	v_max3_f32 v183, |v74|, |v75|, v183                        // 000000009C64: D1D303B7 06DE974A
	v_max3_f32 v183, |v76|, |v77|, v183                        // 000000009C6C: D1D303B7 06DE9B4C
	v_max3_f32 v183, |v78|, |v79|, v183                        // 000000009C74: D1D303B7 06DE9F4E
	v_max3_f32 v183, |v80|, |v81|, v183                        // 000000009C7C: D1D303B7 06DEA350
	v_max3_f32 v183, |v82|, |v83|, v183                        // 000000009C84: D1D303B7 06DEA752
	v_mov_b32_e32 v184, 0x358637bd                             // 000000009C8C: 7F7002FF 358637BD
	v_max3_f32 v184, |v84|, |v85|, v184                        // 000000009C94: D1D303B8 06E2AB54
	v_max3_f32 v184, |v86|, |v87|, v184                        // 000000009C9C: D1D303B8 06E2AF56
	v_max3_f32 v184, |v88|, |v89|, v184                        // 000000009CA4: D1D303B8 06E2B358
	v_max3_f32 v184, |v90|, |v91|, v184                        // 000000009CAC: D1D303B8 06E2B75A
	v_max3_f32 v184, |v92|, |v93|, v184                        // 000000009CB4: D1D303B8 06E2BB5C
	v_max3_f32 v184, |v94|, |v95|, v184                        // 000000009CBC: D1D303B8 06E2BF5E
	v_max3_f32 v184, |v96|, |v97|, v184                        // 000000009CC4: D1D303B8 06E2C360
	v_max3_f32 v184, |v98|, |v99|, v184                        // 000000009CCC: D1D303B8 06E2C762
	ds_bpermute_b32 v188, v208, v182                           // 000000009CD4: D87E0000 BC00B6D0
	ds_bpermute_b32 v189, v209, v182                           // 000000009CDC: D87E0000 BD00B6D1
	ds_bpermute_b32 v190, v210, v182                           // 000000009CE4: D87E0000 BE00B6D2
	ds_bpermute_b32 v191, v208, v183                           // 000000009CEC: D87E0000 BF00B7D0
	ds_bpermute_b32 v192, v209, v183                           // 000000009CF4: D87E0000 C000B7D1
	ds_bpermute_b32 v193, v210, v183                           // 000000009CFC: D87E0000 C100B7D2
	ds_bpermute_b32 v194, v208, v184                           // 000000009D04: D87E0000 C200B8D0
	ds_bpermute_b32 v195, v209, v184                           // 000000009D0C: D87E0000 C300B8D1
	ds_bpermute_b32 v196, v210, v184                           // 000000009D14: D87E0000 C400B8D2
	s_waitcnt lgkmcnt(6)                                       // 000000009D1C: BF8CC67F
	v_max3_f32 v182, v188, v189, v182                          // 000000009D20: D1D300B6 06DB7BBC
	v_max_f32_e32 v182, v190, v182                             // 000000009D28: 176D6DBE
	s_waitcnt lgkmcnt(3)                                       // 000000009D2C: BF8CC37F
	v_max3_f32 v183, v191, v192, v183                          // 000000009D30: D1D300B7 06DF81BF
	v_max_f32_e32 v183, v193, v183                             // 000000009D38: 176F6FC1
	s_waitcnt lgkmcnt(0)                                       // 000000009D3C: BF8CC07F
	v_max3_f32 v184, v194, v195, v184                          // 000000009D40: D1D300B8 06E387C2
	v_max_f32_e32 v184, v196, v184                             // 000000009D48: 177171C4
	ds_write_b128 v249, v[182:185] offset:4096                 // 000000009D4C: D9BE1000 0000B6F9
	buffer_load_dword v154, v235, s[20:23], 0 offen            // 000000009D54: E0501000 80059AEB
	v_sub_f32_e32 v170, v164, v167                             // 000000009D5C: 05554FA4
	v_cmp_eq_u32_e64 s[98:99], v222, v164                      // 000000009D60: D0CA0062 000349DE
	v_cndmask_b32_e64 v170, v170, 0, s[98:99]                  // 000000009D68: D10000AA 018901AA
	v_mov_b32_e32 v164, v167                                   // 000000009D70: 7F4803A7
	v_mul_f32_e32 v170, s46, v170                              // 000000009D74: 0B55542E
	v_exp_f32_e32 v170, v170                                   // 000000009D78: 7F5441AA
	v_sub_f32_e32 v172, v165, v168                             // 000000009D7C: 055951A5
	v_cmp_eq_u32_e64 s[98:99], v222, v165                      // 000000009D80: D0CA0062 00034BDE
	v_cndmask_b32_e64 v172, v172, 0, s[98:99]                  // 000000009D88: D10000AC 018901AC
	v_mov_b32_e32 v165, v168                                   // 000000009D90: 7F4A03A8
	v_mul_f32_e32 v172, s46, v172                              // 000000009D94: 0B59582E
	v_exp_f32_e32 v172, v172                                   // 000000009D98: 7F5841AC
	v_sub_f32_e32 v174, v166, v169                             // 000000009D9C: 055D53A6
	v_cmp_eq_u32_e64 s[98:99], v222, v166                      // 000000009DA0: D0CA0062 00034DDE
	v_cndmask_b32_e64 v174, v174, 0, s[98:99]                  // 000000009DA8: D10000AE 018901AE
	v_mov_b32_e32 v166, v169                                   // 000000009DB0: 7F4C03A9
	v_mul_f32_e32 v174, s46, v174                              // 000000009DB4: 0B5D5C2E
	v_exp_f32_e32 v174, v174                                   // 000000009DB8: 7F5C41AE
	v_mov_b32_e32 v171, v170                                   // 000000009DBC: 7F5603AA
	v_mov_b32_e32 v173, v172                                   // 000000009DC0: 7F5A03AC
	v_mov_b32_e32 v175, v174                                   // 000000009DC4: 7F5E03AE
	s_waitcnt lgkmcnt(0)                                       // 000000009DC8: BF8CC07F
	s_barrier                                                  // 000000009DCC: BF8A0000
	buffer_load_dword v156, v236, s[24:27], 0 offen            // 000000009DD0: E0501000 80069CEC
	v_mul_f32_e32 v176, v170, v176                             // 000000009DD8: 0B6161AA
	v_mov_b32_e32 v177, 0                                      // 000000009DDC: 7F620280
	v_pk_add_f32 v[176:177], v[4:5], v[176:177]                // 000000009DE0: D3B240B0 18036104
	v_pk_add_f32 v[176:177], v[6:7], v[176:177]                // 000000009DE8: D3B240B0 18036106
	v_pk_add_f32 v[176:177], v[8:9], v[176:177]                // 000000009DF0: D3B240B0 18036108
	v_pk_add_f32 v[176:177], v[10:11], v[176:177]              // 000000009DF8: D3B240B0 1803610A
	v_pk_add_f32 v[176:177], v[12:13], v[176:177]              // 000000009E00: D3B240B0 1803610C
	v_pk_add_f32 v[176:177], v[14:15], v[176:177]              // 000000009E08: D3B240B0 1803610E
	v_pk_add_f32 v[176:177], v[16:17], v[176:177]              // 000000009E10: D3B240B0 18036110
	v_pk_add_f32 v[176:177], v[18:19], v[176:177]              // 000000009E18: D3B240B0 18036112
	v_add_f32_e32 v176, v177, v176                             // 000000009E20: 036161B1
	v_mul_f32_e32 v178, v172, v178                             // 000000009E24: 0B6565AC
	v_mov_b32_e32 v179, 0                                      // 000000009E28: 7F660280
	v_pk_add_f32 v[178:179], v[20:21], v[178:179]              // 000000009E2C: D3B240B2 18036514
	v_pk_add_f32 v[178:179], v[22:23], v[178:179]              // 000000009E34: D3B240B2 18036516
	v_pk_add_f32 v[178:179], v[24:25], v[178:179]              // 000000009E3C: D3B240B2 18036518
	v_pk_add_f32 v[178:179], v[26:27], v[178:179]              // 000000009E44: D3B240B2 1803651A
	v_pk_add_f32 v[178:179], v[28:29], v[178:179]              // 000000009E4C: D3B240B2 1803651C
	v_pk_add_f32 v[178:179], v[30:31], v[178:179]              // 000000009E54: D3B240B2 1803651E
	v_pk_add_f32 v[178:179], v[32:33], v[178:179]              // 000000009E5C: D3B240B2 18036520
	v_pk_add_f32 v[178:179], v[34:35], v[178:179]              // 000000009E64: D3B240B2 18036522
	v_add_f32_e32 v178, v179, v178                             // 000000009E6C: 036565B3
	v_mul_f32_e32 v180, v174, v180                             // 000000009E70: 0B6969AE
	v_mov_b32_e32 v181, 0                                      // 000000009E74: 7F6A0280
	v_pk_add_f32 v[180:181], v[36:37], v[180:181]              // 000000009E78: D3B240B4 18036924
	v_pk_add_f32 v[180:181], v[38:39], v[180:181]              // 000000009E80: D3B240B4 18036926
	v_pk_add_f32 v[180:181], v[40:41], v[180:181]              // 000000009E88: D3B240B4 18036928
	v_pk_add_f32 v[180:181], v[42:43], v[180:181]              // 000000009E90: D3B240B4 1803692A
	v_pk_add_f32 v[180:181], v[44:45], v[180:181]              // 000000009E98: D3B240B4 1803692C
	v_pk_add_f32 v[180:181], v[46:47], v[180:181]              // 000000009EA0: D3B240B4 1803692E
	v_pk_add_f32 v[180:181], v[48:49], v[180:181]              // 000000009EA8: D3B240B4 18036930
	v_pk_add_f32 v[180:181], v[50:51], v[180:181]              // 000000009EB0: D3B240B4 18036932
	v_add_f32_e32 v180, v181, v180                             // 000000009EB8: 036969B5
	ds_read_b128 v[188:191], v250 offset:4096                  // 000000009EBC: D9FE1000 BC0000FA
	ds_read_b128 v[192:195], v250 offset:4352                  // 000000009EC4: D9FE1100 C00000FA
	ds_read_b128 v[196:199], v250 offset:4608                  // 000000009ECC: D9FE1200 C40000FA
	ds_read_b128 v[200:203], v250 offset:4864                  // 000000009ED4: D9FE1300 C80000FA
	s_waitcnt lgkmcnt(0)                                       // 000000009EDC: BF8CC07F
	v_max3_f32 v182, v188, v192, v182                          // 000000009EE0: D1D300B6 06DB81BC
	v_max3_f32 v183, v189, v193, v183                          // 000000009EE8: D1D300B7 06DF83BD
	v_max3_f32 v184, v190, v194, v184                          // 000000009EF0: D1D300B8 06E385BE
	v_max3_f32 v182, v196, v200, v182                          // 000000009EF8: D1D300B6 06DB91C4
	v_max3_f32 v183, v197, v201, v183                          // 000000009F00: D1D300B7 06DF93C5
	v_max3_f32 v184, v198, v202, v184                          // 000000009F08: D1D300B8 06E395C6
	v_rcp_f32_e32 v182, v182                                   // 000000009F10: 7F6C45B6
	v_rcp_f32_e32 v183, v183                                   // 000000009F14: 7F6E45B7
	v_rcp_f32_e32 v184, v184                                   // 000000009F18: 7F7045B8
	v_mul_f32_e32 v182, 0x43700000, v182                       // 000000009F1C: 0B6D6CFF 43700000
	v_mul_f32_e32 v183, 0x43700000, v183                       // 000000009F24: 0B6F6EFF 43700000
	v_mul_f32_e32 v184, 0x43700000, v184                       // 000000009F2C: 0B7170FF 43700000
	v_mov_b32_e32 v186, v184                                   // 000000009F34: 7F7403B8
	v_mov_b32_e32 v187, v184                                   // 000000009F38: 7F7603B8
	v_mov_b32_e32 v184, v183                                   // 000000009F3C: 7F7003B7
	v_mov_b32_e32 v185, v183                                   // 000000009F40: 7F7203B7
	v_mov_b32_e32 v183, v182                                   // 000000009F44: 7F6E03B6
	v_pk_mul_f32 v[4:5], v[182:183], v[52:53]                  // 000000009F48: D3B14004 180269B6
	v_pk_mul_f32 v[6:7], v[182:183], v[54:55]                  // 000000009F50: D3B14006 18026DB6
	v_pk_mul_f32 v[8:9], v[182:183], v[56:57]                  // 000000009F58: D3B14008 180271B6
	v_pk_mul_f32 v[10:11], v[182:183], v[58:59]                // 000000009F60: D3B1400A 180275B6
	v_pk_mul_f32 v[12:13], v[182:183], v[60:61]                // 000000009F68: D3B1400C 180279B6
	v_pk_mul_f32 v[14:15], v[182:183], v[62:63]                // 000000009F70: D3B1400E 18027DB6
	v_pk_mul_f32 v[16:17], v[182:183], v[64:65]                // 000000009F78: D3B14010 180281B6
	v_pk_mul_f32 v[18:19], v[182:183], v[66:67]                // 000000009F80: D3B14012 180285B6
	v_pk_mul_f32 v[20:21], v[184:185], v[68:69]                // 000000009F88: D3B14014 180289B8
	v_pk_mul_f32 v[22:23], v[184:185], v[70:71]                // 000000009F90: D3B14016 18028DB8
	v_pk_mul_f32 v[24:25], v[184:185], v[72:73]                // 000000009F98: D3B14018 180291B8
	v_pk_mul_f32 v[26:27], v[184:185], v[74:75]                // 000000009FA0: D3B1401A 180295B8
	v_pk_mul_f32 v[28:29], v[184:185], v[76:77]                // 000000009FA8: D3B1401C 180299B8
	v_pk_mul_f32 v[30:31], v[184:185], v[78:79]                // 000000009FB0: D3B1401E 18029DB8
	v_pk_mul_f32 v[32:33], v[184:185], v[80:81]                // 000000009FB8: D3B14020 1802A1B8
	v_pk_mul_f32 v[34:35], v[184:185], v[82:83]                // 000000009FC0: D3B14022 1802A5B8
	v_pk_mul_f32 v[36:37], v[186:187], v[84:85]                // 000000009FC8: D3B14024 1802A9BA
	v_pk_mul_f32 v[38:39], v[186:187], v[86:87]                // 000000009FD0: D3B14026 1802ADBA
	v_pk_mul_f32 v[40:41], v[186:187], v[88:89]                // 000000009FD8: D3B14028 1802B1BA
	v_pk_mul_f32 v[42:43], v[186:187], v[90:91]                // 000000009FE0: D3B1402A 1802B5BA
	v_pk_mul_f32 v[44:45], v[186:187], v[92:93]                // 000000009FE8: D3B1402C 1802B9BA
	v_pk_mul_f32 v[46:47], v[186:187], v[94:95]                // 000000009FF0: D3B1402E 1802BDBA
	v_pk_mul_f32 v[48:49], v[186:187], v[96:97]                // 000000009FF8: D3B14030 1802C1BA
	v_pk_mul_f32 v[50:51], v[186:187], v[98:99]                // 00000000A000: D3B14032 1802C5BA
	v_cvt_pk_fp8_f32 v4, v4, v5                                // 00000000A008: D2A20004 00020B04
	v_cvt_pk_fp8_f32 v4, v6, v7 op_sel:[0,0,1]                 // 00000000A010: D2A24004 00020F06
	v_cvt_pk_fp8_f32 v5, v8, v9                                // 00000000A018: D2A20005 00021308
	v_cvt_pk_fp8_f32 v5, v10, v11 op_sel:[0,0,1]               // 00000000A020: D2A24005 0002170A
	v_cvt_pk_fp8_f32 v6, v12, v13                              // 00000000A028: D2A20006 00021B0C
	v_cvt_pk_fp8_f32 v6, v14, v15 op_sel:[0,0,1]               // 00000000A030: D2A24006 00021F0E
	v_cvt_pk_fp8_f32 v7, v16, v17                              // 00000000A038: D2A20007 00022310
	v_cvt_pk_fp8_f32 v7, v18, v19 op_sel:[0,0,1]               // 00000000A040: D2A24007 00022712
	v_cvt_pk_fp8_f32 v8, v20, v21                              // 00000000A048: D2A20008 00022B14
	v_cvt_pk_fp8_f32 v8, v22, v23 op_sel:[0,0,1]               // 00000000A050: D2A24008 00022F16
	v_cvt_pk_fp8_f32 v9, v24, v25                              // 00000000A058: D2A20009 00023318
	v_cvt_pk_fp8_f32 v9, v26, v27 op_sel:[0,0,1]               // 00000000A060: D2A24009 0002371A
	v_cvt_pk_fp8_f32 v10, v28, v29                             // 00000000A068: D2A2000A 00023B1C
	v_cvt_pk_fp8_f32 v10, v30, v31 op_sel:[0,0,1]              // 00000000A070: D2A2400A 00023F1E
	v_cvt_pk_fp8_f32 v11, v32, v33                             // 00000000A078: D2A2000B 00024320
	v_cvt_pk_fp8_f32 v11, v34, v35 op_sel:[0,0,1]              // 00000000A080: D2A2400B 00024722
	v_cvt_pk_fp8_f32 v12, v36, v37                             // 00000000A088: D2A2000C 00024B24
	v_cvt_pk_fp8_f32 v12, v38, v39 op_sel:[0,0,1]              // 00000000A090: D2A2400C 00024F26
	v_cvt_pk_fp8_f32 v13, v40, v41                             // 00000000A098: D2A2000D 00025328
	v_cvt_pk_fp8_f32 v13, v42, v43 op_sel:[0,0,1]              // 00000000A0A0: D2A2400D 0002572A
	v_cvt_pk_fp8_f32 v14, v44, v45                             // 00000000A0A8: D2A2000E 00025B2C
	v_cvt_pk_fp8_f32 v14, v46, v47 op_sel:[0,0,1]              // 00000000A0B0: D2A2400E 00025F2E
	v_cvt_pk_fp8_f32 v15, v48, v49                             // 00000000A0B8: D2A2000F 00026330
	v_cvt_pk_fp8_f32 v15, v50, v51 op_sel:[0,0,1]              // 00000000A0C0: D2A2400F 00026732
	ds_write_b32 v251, v4 offset:8192                          // 00000000A0C8: D81A2000 000004FB
	ds_write_b32 v251, v5 offset:9216                          // 00000000A0D0: D81A2400 000005FB
	ds_write_b32 v251, v6 offset:10240                         // 00000000A0D8: D81A2800 000006FB
	ds_write_b32 v251, v7 offset:11264                         // 00000000A0E0: D81A2C00 000007FB
	ds_write_b32 v251, v8 offset:12288                         // 00000000A0E8: D81A3000 000008FB
	ds_write_b32 v251, v9 offset:13312                         // 00000000A0F0: D81A3400 000009FB
	ds_write_b32 v251, v10 offset:14336                        // 00000000A0F8: D81A3800 00000AFB
	ds_write_b32 v251, v11 offset:15360                        // 00000000A100: D81A3C00 00000BFB
	ds_write_b32 v251, v12 offset:16384                        // 00000000A108: D81A4000 00000CFB
	ds_write_b32 v251, v13 offset:17408                        // 00000000A110: D81A4400 00000DFB
	ds_write_b32 v251, v14 offset:18432                        // 00000000A118: D81A4800 00000EFB
	ds_write_b32 v251, v15 offset:19456                        // 00000000A120: D81A4C00 00000FFB
	v_rcp_f32_e32 v158, v182                                   // 00000000A128: 7F3C45B6
	v_rcp_f32_e32 v160, v184                                   // 00000000A12C: 7F4045B8
	v_rcp_f32_e32 v162, v186                                   // 00000000A130: 7F4445BA
	v_mov_b32_e32 v159, v158                                   // 00000000A134: 7F3E039E
	v_mov_b32_e32 v161, v160                                   // 00000000A138: 7F4203A0
	v_mov_b32_e32 v163, v162                                   // 00000000A13C: 7F4603A2
	v_pk_add_f32 v[124:125], v[124:125], v[100:101]            // 00000000A140: D3B2407C 1802C97C
	v_pk_add_f32 v[126:127], v[126:127], v[102:103]            // 00000000A148: D3B2407E 1802CD7E
	v_pk_add_f32 v[128:129], v[128:129], v[104:105]            // 00000000A150: D3B24080 1802D180
	v_pk_add_f32 v[130:131], v[130:131], v[106:107]            // 00000000A158: D3B24082 1802D582
	v_pk_add_f32 v[132:133], v[132:133], v[108:109]            // 00000000A160: D3B24084 1802D984
	v_pk_add_f32 v[134:135], v[134:135], v[110:111]            // 00000000A168: D3B24086 1802DD86
	v_pk_add_f32 v[136:137], v[136:137], v[112:113]            // 00000000A170: D3B24088 1802E188
	v_pk_add_f32 v[138:139], v[138:139], v[114:115]            // 00000000A178: D3B2408A 1802E58A
	v_pk_add_f32 v[140:141], v[140:141], v[116:117]            // 00000000A180: D3B2408C 1802E98C
	v_pk_add_f32 v[142:143], v[142:143], v[118:119]            // 00000000A188: D3B2408E 1802ED8E
	v_pk_add_f32 v[144:145], v[144:145], v[120:121]            // 00000000A190: D3B24090 1802F190
	v_pk_add_f32 v[146:147], v[146:147], v[122:123]            // 00000000A198: D3B24092 1802F592
	s_waitcnt lgkmcnt(0)                                       // 00000000A1A0: BF8CC07F
	s_barrier                                                  // 00000000A1A4: BF8A0000
	ds_read_b128 v[4:7], v252 offset:8192                      // 00000000A1A8: D9FE2000 040000FC
	ds_read_b128 v[8:11], v252 offset:9216                     // 00000000A1B0: D9FE2400 080000FC
	ds_read_b128 v[12:15], v252 offset:10240                   // 00000000A1B8: D9FE2800 0C0000FC
	ds_read_b128 v[16:19], v252 offset:11264                   // 00000000A1C0: D9FE2C00 100000FC
	ds_read_b128 v[20:23], v252 offset:12288                   // 00000000A1C8: D9FE3000 140000FC
	ds_read_b128 v[24:27], v252 offset:13312                   // 00000000A1D0: D9FE3400 180000FC
	ds_read_b128 v[28:31], v252 offset:14336                   // 00000000A1D8: D9FE3800 1C0000FC
	ds_read_b128 v[32:35], v252 offset:15360                   // 00000000A1E0: D9FE3C00 200000FC
	ds_read_b128 v[36:39], v252 offset:16384                   // 00000000A1E8: D9FE4000 240000FC
	ds_read_b128 v[40:43], v252 offset:17408                   // 00000000A1F0: D9FE4400 280000FC
	ds_read_b128 v[44:47], v252 offset:18432                   // 00000000A1F8: D9FE4800 2C0000FC
	ds_read_b128 v[48:51], v252 offset:19456                   // 00000000A200: D9FE4C00 300000FC
	s_waitcnt vmcnt(10)                                        // 00000000A208: BF8C0F7A
	s_waitcnt lgkmcnt(11)                                      // 00000000A20C: BF8CCB7F
	v_mfma_f32_16x16x32_fp8_fp8 v[100:103], a[120:121], v[4:5], 0// 00000000A210: D3F30064 0A020978
	v_mfma_f32_16x16x32_fp8_fp8 v[104:107], a[136:137], v[4:5], 0// 00000000A218: D3F30068 0A020988
	v_mfma_f32_16x16x32_fp8_fp8 v[100:103], a[122:123], v[6:7], v[100:103]// 00000000A220: D3F30064 0D920D7A
	buffer_load_dwordx4 a[88:91], v231, s[16:19], 0 offen      // 00000000A228: E05C1000 808458E7
	v_mfma_f32_16x16x32_fp8_fp8 v[104:107], a[138:139], v[6:7], v[104:107]// 00000000A230: D3F30068 0DA20D8A
	s_waitcnt lgkmcnt(10)                                      // 00000000A238: BF8CCA7F
	v_mfma_f32_16x16x32_fp8_fp8 v[100:103], a[124:125], v[8:9], v[100:103]// 00000000A23C: D3F30064 0D92117C
	v_mfma_f32_16x16x32_fp8_fp8 v[104:107], a[140:141], v[8:9], v[104:107]// 00000000A244: D3F30068 0DA2118C
	v_mfma_f32_16x16x32_fp8_fp8 v[100:103], a[126:127], v[10:11], v[100:103]// 00000000A24C: D3F30064 0D92157E
	buffer_load_dwordx4 a[92:95], v232, s[16:19], 0 offen      // 00000000A254: E05C1000 80845CE8
	v_mfma_f32_16x16x32_fp8_fp8 v[104:107], a[142:143], v[10:11], v[104:107]// 00000000A25C: D3F30068 0DA2158E
	s_waitcnt lgkmcnt(9)                                       // 00000000A264: BF8CC97F
	v_mfma_f32_16x16x32_fp8_fp8 v[100:103], a[128:129], v[12:13], v[100:103]// 00000000A268: D3F30064 0D921980
	v_mfma_f32_16x16x32_fp8_fp8 v[104:107], a[144:145], v[12:13], v[104:107]// 00000000A270: D3F30068 0DA21990
	v_mfma_f32_16x16x32_fp8_fp8 v[100:103], a[130:131], v[14:15], v[100:103]// 00000000A278: D3F30064 0D921D82
	buffer_load_dwordx4 a[96:99], v233, s[16:19], 0 offen      // 00000000A280: E05C1000 808460E9
	v_mfma_f32_16x16x32_fp8_fp8 v[104:107], a[146:147], v[14:15], v[104:107]// 00000000A288: D3F30068 0DA21D92
	s_waitcnt lgkmcnt(8)                                       // 00000000A290: BF8CC87F
	v_mfma_f32_16x16x32_fp8_fp8 v[100:103], a[132:133], v[16:17], v[100:103]// 00000000A294: D3F30064 0D922184
	v_mfma_f32_16x16x32_fp8_fp8 v[104:107], a[148:149], v[16:17], v[104:107]// 00000000A29C: D3F30068 0DA22194
	v_mfma_f32_16x16x32_fp8_fp8 v[100:103], a[134:135], v[18:19], v[100:103]// 00000000A2A4: D3F30064 0D922586
	buffer_load_dwordx4 a[100:103], v234, s[16:19], 0 offen    // 00000000A2AC: E05C1000 808464EA
	v_mfma_f32_16x16x32_fp8_fp8 v[104:107], a[150:151], v[18:19], v[104:107]// 00000000A2B4: D3F30068 0DA22596
	s_waitcnt lgkmcnt(7)                                       // 00000000A2BC: BF8CC77F
	v_mfma_f32_16x16x32_fp8_fp8 v[108:111], a[120:121], v[20:21], 0// 00000000A2C0: D3F3006C 0A022978
	v_mfma_f32_16x16x32_fp8_fp8 v[112:115], a[136:137], v[20:21], 0// 00000000A2C8: D3F30070 0A022988
	v_mfma_f32_16x16x32_fp8_fp8 v[108:111], a[122:123], v[22:23], v[108:111]// 00000000A2D0: D3F3006C 0DB22D7A
	buffer_load_dwordx4 a[104:107], v231, s[16:19], 0 offen offset:1024// 00000000A2D8: E05C1400 808468E7
	v_mfma_f32_16x16x32_fp8_fp8 v[112:115], a[138:139], v[22:23], v[112:115]// 00000000A2E0: D3F30070 0DC22D8A
	s_waitcnt lgkmcnt(6)                                       // 00000000A2E8: BF8CC67F
	v_mfma_f32_16x16x32_fp8_fp8 v[108:111], a[124:125], v[24:25], v[108:111]// 00000000A2EC: D3F3006C 0DB2317C
	v_mfma_f32_16x16x32_fp8_fp8 v[112:115], a[140:141], v[24:25], v[112:115]// 00000000A2F4: D3F30070 0DC2318C
	v_mfma_f32_16x16x32_fp8_fp8 v[108:111], a[126:127], v[26:27], v[108:111]// 00000000A2FC: D3F3006C 0DB2357E
	buffer_load_dwordx4 a[108:111], v232, s[16:19], 0 offen offset:1024// 00000000A304: E05C1400 80846CE8
	v_mfma_f32_16x16x32_fp8_fp8 v[112:115], a[142:143], v[26:27], v[112:115]// 00000000A30C: D3F30070 0DC2358E
	s_waitcnt lgkmcnt(5)                                       // 00000000A314: BF8CC57F
	v_mfma_f32_16x16x32_fp8_fp8 v[108:111], a[128:129], v[28:29], v[108:111]// 00000000A318: D3F3006C 0DB23980
	v_mfma_f32_16x16x32_fp8_fp8 v[112:115], a[144:145], v[28:29], v[112:115]// 00000000A320: D3F30070 0DC23990
	v_mfma_f32_16x16x32_fp8_fp8 v[108:111], a[130:131], v[30:31], v[108:111]// 00000000A328: D3F3006C 0DB23D82
	buffer_load_dwordx4 a[112:115], v233, s[16:19], 0 offen offset:1024// 00000000A330: E05C1400 808470E9
	v_mfma_f32_16x16x32_fp8_fp8 v[112:115], a[146:147], v[30:31], v[112:115]// 00000000A338: D3F30070 0DC23D92
	s_waitcnt lgkmcnt(4)                                       // 00000000A340: BF8CC47F
	v_mfma_f32_16x16x32_fp8_fp8 v[108:111], a[132:133], v[32:33], v[108:111]// 00000000A344: D3F3006C 0DB24184
	v_mfma_f32_16x16x32_fp8_fp8 v[112:115], a[148:149], v[32:33], v[112:115]// 00000000A34C: D3F30070 0DC24194
	v_mfma_f32_16x16x32_fp8_fp8 v[108:111], a[134:135], v[34:35], v[108:111]// 00000000A354: D3F3006C 0DB24586
	buffer_load_dwordx4 a[116:119], v234, s[16:19], 0 offen offset:1024// 00000000A35C: E05C1400 808474EA
	v_mfma_f32_16x16x32_fp8_fp8 v[112:115], a[150:151], v[34:35], v[112:115]// 00000000A364: D3F30070 0DC24596
	s_waitcnt lgkmcnt(3)                                       // 00000000A36C: BF8CC37F
	v_mfma_f32_16x16x32_fp8_fp8 v[116:119], a[120:121], v[36:37], 0// 00000000A370: D3F30074 0A024978
	v_mfma_f32_16x16x32_fp8_fp8 v[120:123], a[136:137], v[36:37], 0// 00000000A378: D3F30078 0A024988
	v_mfma_f32_16x16x32_fp8_fp8 v[116:119], a[122:123], v[38:39], v[116:119]// 00000000A380: D3F30074 0DD24D7A
	v_mfma_f32_16x16x32_fp8_fp8 v[120:123], a[138:139], v[38:39], v[120:123]// 00000000A388: D3F30078 0DE24D8A
	s_waitcnt lgkmcnt(2)                                       // 00000000A390: BF8CC27F
	v_mfma_f32_16x16x32_fp8_fp8 v[116:119], a[124:125], v[40:41], v[116:119]// 00000000A394: D3F30074 0DD2517C
	v_mfma_f32_16x16x32_fp8_fp8 v[120:123], a[140:141], v[40:41], v[120:123]// 00000000A39C: D3F30078 0DE2518C
	v_mfma_f32_16x16x32_fp8_fp8 v[116:119], a[126:127], v[42:43], v[116:119]// 00000000A3A4: D3F30074 0DD2557E
	v_mfma_f32_16x16x32_fp8_fp8 v[120:123], a[142:143], v[42:43], v[120:123]// 00000000A3AC: D3F30078 0DE2558E
	s_waitcnt lgkmcnt(1)                                       // 00000000A3B4: BF8CC17F
	v_mfma_f32_16x16x32_fp8_fp8 v[116:119], a[128:129], v[44:45], v[116:119]// 00000000A3B8: D3F30074 0DD25980
	v_mfma_f32_16x16x32_fp8_fp8 v[120:123], a[144:145], v[44:45], v[120:123]// 00000000A3C0: D3F30078 0DE25990
	v_mfma_f32_16x16x32_fp8_fp8 v[116:119], a[130:131], v[46:47], v[116:119]// 00000000A3C8: D3F30074 0DD25D82
	v_mfma_f32_16x16x32_fp8_fp8 v[120:123], a[146:147], v[46:47], v[120:123]// 00000000A3D0: D3F30078 0DE25D92
	s_waitcnt lgkmcnt(0)                                       // 00000000A3D8: BF8CC07F
	v_mfma_f32_16x16x32_fp8_fp8 v[116:119], a[132:133], v[48:49], v[116:119]// 00000000A3DC: D3F30074 0DD26184
	v_mfma_f32_16x16x32_fp8_fp8 v[120:123], a[148:149], v[48:49], v[120:123]// 00000000A3E4: D3F30078 0DE26194
	v_mfma_f32_16x16x32_fp8_fp8 v[116:119], a[134:135], v[50:51], v[116:119]// 00000000A3EC: D3F30074 0DD26586
	v_mfma_f32_16x16x32_fp8_fp8 v[120:123], a[150:151], v[50:51], v[120:123]// 00000000A3F4: D3F30078 0DE26596
	s_addk_i32 s64, 0x100                                      // 00000000A3FC: B7400100
	s_cmp_lt_i32 s64, s63                                      // 00000000A400: BF043F40
	s_cbranch_scc0 label_372A                                  // 00000000A404: BF841828
	s_waitcnt vmcnt(10)                                        // 00000000A408: BF8C0F7A
	v_mfma_f32_16x16x32_fp8_fp8 v[4:7], a[24:25], a[0:1], 0    // 00000000A40C: D3F30004 1A020118
	s_add_u32 s12, s86, s69                                    // 00000000A414: 800C4556
	s_addc_u32 s13, s87, 0                                     // 00000000A418: 820D8057
	v_mfma_f32_16x16x32_fp8_fp8 v[4:7], a[26:27], a[2:3], v[4:7]// 00000000A41C: D3F30004 1C12051A
	s_add_u32 s16, s88, s70                                    // 00000000A424: 80104658
	s_addc_u32 s17, s89, 0                                     // 00000000A428: 82118059
	v_mfma_f32_16x16x32_fp8_fp8 v[4:7], a[28:29], a[4:5], v[4:7]// 00000000A42C: D3F30004 1C12091C
	buffer_load_dwordx4 a[56:59], v229, s[12:15], 0 offen      // 00000000A434: E05C1000 808338E5
	v_mfma_f32_16x16x32_fp8_fp8 v[4:7], a[30:31], a[6:7], v[4:7]// 00000000A43C: D3F30004 1C120D1E
	s_add_u32 s20, s90, s71                                    // 00000000A444: 8014475A
	s_addc_u32 s21, s91, 0                                     // 00000000A448: 8215805B
	v_mfma_f32_16x16x32_fp8_fp8 v[8:11], a[32:33], a[0:1], 0   // 00000000A44C: D3F30008 1A020120
	s_add_u32 s24, s92, s71                                    // 00000000A454: 8018475C
	s_addc_u32 s25, s93, 0                                     // 00000000A458: 8219805D
	v_mfma_f32_16x16x32_fp8_fp8 v[8:11], a[34:35], a[2:3], v[8:11]// 00000000A45C: D3F30008 1C220522
	s_mul_i32 s69, s59, s50                                    // 00000000A464: 9245323B
	s_mul_i32 s71, s59, s66                                    // 00000000A468: 9247423B
	v_mfma_f32_16x16x32_fp8_fp8 v[8:11], a[36:37], a[4:5], v[8:11]// 00000000A46C: D3F30008 1C220924
	buffer_load_dwordx4 a[60:63], v230, s[12:15], 0 offen      // 00000000A474: E05C1000 80833CE6
	v_mfma_f32_16x16x32_fp8_fp8 v[8:11], a[38:39], a[6:7], v[8:11]// 00000000A47C: D3F30008 1C220D26
	s_mul_i32 s54, s78, s51                                    // 00000000A484: 9236334E
	s_add_u32 s69, s69, s54                                    // 00000000A488: 80453645
	v_mfma_f32_16x16x32_fp8_fp8 v[12:15], a[40:41], a[0:1], 0  // 00000000A48C: D3F3000C 1A020128
	s_mov_b32 s70, s69                                         // 00000000A494: BEC60045
	v_mfma_f32_16x16x32_fp8_fp8 v[12:15], a[42:43], a[2:3], v[12:15]// 00000000A498: D3F3000C 1C32052A
	s_mul_i32 s54, s78, s100                                   // 00000000A4A0: 9236644E
	s_add_u32 s71, s71, s54                                    // 00000000A4A4: 80473647
	v_mfma_f32_16x16x32_fp8_fp8 v[12:15], a[44:45], a[4:5], v[12:15]// 00000000A4A8: D3F3000C 1C32092C
	buffer_load_dwordx4 a[64:67], v229, s[12:15], 0 offen offset:1024// 00000000A4B0: E05C1400 808340E5
	v_mfma_f32_16x16x32_fp8_fp8 v[12:15], a[46:47], a[6:7], v[12:15]// 00000000A4B8: D3F3000C 1C320D2E
	v_mfma_f32_16x16x32_fp8_fp8 v[16:19], a[48:49], a[0:1], 0  // 00000000A4C0: D3F30010 1A020130
	v_mfma_f32_16x16x32_fp8_fp8 v[16:19], a[50:51], a[2:3], v[16:19]// 00000000A4C8: D3F30010 1C420532
	v_mfma_f32_16x16x32_fp8_fp8 v[16:19], a[52:53], a[4:5], v[16:19]// 00000000A4D0: D3F30010 1C420934
	buffer_load_dwordx4 a[68:71], v230, s[12:15], 0 offen offset:1024// 00000000A4D8: E05C1400 808344E6
	v_mfma_f32_16x16x32_fp8_fp8 v[16:19], a[54:55], a[6:7], v[16:19]// 00000000A4E0: D3F30010 1C420D36
	v_mfma_f32_16x16x32_fp8_fp8 v[20:23], a[24:25], a[8:9], 0  // 00000000A4E8: D3F30014 1A021118
	v_mfma_f32_16x16x32_fp8_fp8 v[20:23], a[26:27], a[10:11], v[20:23]// 00000000A4F0: D3F30014 1C52151A
	v_mfma_f32_16x16x32_fp8_fp8 v[20:23], a[28:29], a[12:13], v[20:23]// 00000000A4F8: D3F30014 1C52191C
	buffer_load_dwordx4 a[72:75], v229, s[12:15], 0 offen offset:2048// 00000000A500: E05C1800 808348E5
	v_mfma_f32_16x16x32_fp8_fp8 v[20:23], a[30:31], a[14:15], v[20:23]// 00000000A508: D3F30014 1C521D1E
	v_mfma_f32_16x16x32_fp8_fp8 v[24:27], a[32:33], a[8:9], 0  // 00000000A510: D3F30018 1A021120
	v_mfma_f32_16x16x32_fp8_fp8 v[24:27], a[34:35], a[10:11], v[24:27]// 00000000A518: D3F30018 1C621522
	v_mfma_f32_16x16x32_fp8_fp8 v[24:27], a[36:37], a[12:13], v[24:27]// 00000000A520: D3F30018 1C621924
	buffer_load_dwordx4 a[76:79], v230, s[12:15], 0 offen offset:2048// 00000000A528: E05C1800 80834CE6
	v_mfma_f32_16x16x32_fp8_fp8 v[24:27], a[38:39], a[14:15], v[24:27]// 00000000A530: D3F30018 1C621D26
	v_mfma_f32_16x16x32_fp8_fp8 v[28:31], a[40:41], a[8:9], 0  // 00000000A538: D3F3001C 1A021128
	v_mfma_f32_16x16x32_fp8_fp8 v[28:31], a[42:43], a[10:11], v[28:31]// 00000000A540: D3F3001C 1C72152A
	v_mfma_f32_16x16x32_fp8_fp8 v[28:31], a[44:45], a[12:13], v[28:31]// 00000000A548: D3F3001C 1C72192C
	buffer_load_dwordx4 a[80:83], v229, s[12:15], 0 offen offset:3072// 00000000A550: E05C1C00 808350E5
	v_mfma_f32_16x16x32_fp8_fp8 v[28:31], a[46:47], a[14:15], v[28:31]// 00000000A558: D3F3001C 1C721D2E
	v_mfma_f32_16x16x32_fp8_fp8 v[32:35], a[48:49], a[8:9], 0  // 00000000A560: D3F30020 1A021130
	v_mfma_f32_16x16x32_fp8_fp8 v[32:35], a[50:51], a[10:11], v[32:35]// 00000000A568: D3F30020 1C821532
	v_mfma_f32_16x16x32_fp8_fp8 v[32:35], a[52:53], a[12:13], v[32:35]// 00000000A570: D3F30020 1C821934
	buffer_load_dwordx4 a[84:87], v230, s[12:15], 0 offen offset:3072// 00000000A578: E05C1C00 808354E6
	v_mfma_f32_16x16x32_fp8_fp8 v[32:35], a[54:55], a[14:15], v[32:35]// 00000000A580: D3F30020 1C821D36
	v_mfma_f32_16x16x32_fp8_fp8 v[36:39], a[24:25], a[16:17], 0// 00000000A588: D3F30024 1A022118
	v_mfma_f32_16x16x32_fp8_fp8 v[36:39], a[26:27], a[18:19], v[36:39]// 00000000A590: D3F30024 1C92251A
	v_mfma_f32_16x16x32_fp8_fp8 v[36:39], a[28:29], a[20:21], v[36:39]// 00000000A598: D3F30024 1C92291C
	v_mfma_f32_16x16x32_fp8_fp8 v[36:39], a[30:31], a[22:23], v[36:39]// 00000000A5A0: D3F30024 1C922D1E
	v_mfma_f32_16x16x32_fp8_fp8 v[40:43], a[32:33], a[16:17], 0// 00000000A5A8: D3F30028 1A022120
	v_mfma_f32_16x16x32_fp8_fp8 v[40:43], a[34:35], a[18:19], v[40:43]// 00000000A5B0: D3F30028 1CA22522
	v_mfma_f32_16x16x32_fp8_fp8 v[40:43], a[36:37], a[20:21], v[40:43]// 00000000A5B8: D3F30028 1CA22924
	v_mfma_f32_16x16x32_fp8_fp8 v[40:43], a[38:39], a[22:23], v[40:43]// 00000000A5C0: D3F30028 1CA22D26
	v_mfma_f32_16x16x32_fp8_fp8 v[44:47], a[40:41], a[16:17], 0// 00000000A5C8: D3F3002C 1A022128
	v_mfma_f32_16x16x32_fp8_fp8 v[44:47], a[42:43], a[18:19], v[44:47]// 00000000A5D0: D3F3002C 1CB2252A
	v_mfma_f32_16x16x32_fp8_fp8 v[44:47], a[44:45], a[20:21], v[44:47]// 00000000A5D8: D3F3002C 1CB2292C
	v_mfma_f32_16x16x32_fp8_fp8 v[44:47], a[46:47], a[22:23], v[44:47]// 00000000A5E0: D3F3002C 1CB22D2E
	v_mfma_f32_16x16x32_fp8_fp8 v[48:51], a[48:49], a[16:17], 0// 00000000A5E8: D3F30030 1A022130
	v_mfma_f32_16x16x32_fp8_fp8 v[48:51], a[50:51], a[18:19], v[48:51]// 00000000A5F0: D3F30030 1CC22532
	v_mfma_f32_16x16x32_fp8_fp8 v[48:51], a[52:53], a[20:21], v[48:51]// 00000000A5F8: D3F30030 1CC22934
	v_mfma_f32_16x16x32_fp8_fp8 v[48:51], a[54:55], a[22:23], v[48:51]// 00000000A600: D3F30030 1CC22D36
	s_waitcnt vmcnt(16)                                        // 00000000A608: BF8C4F70
	v_pk_mul_f32 v[4:5], v[148:149], v[4:5]                    // 00000000A60C: D3B14004 18020994
	v_pk_mul_f32 v[6:7], v[148:149], v[6:7]                    // 00000000A614: D3B14006 18020D94
	v_mul_f32_dpp v4, v154, v4 row_newbcast:0 row_mask:0xf bank_mask:0xf// 00000000A61C: 0A0808FA FF01509A
	v_mul_f32_dpp v5, v154, v5 row_newbcast:1 row_mask:0xf bank_mask:0xf// 00000000A624: 0A0A0AFA FF01519A
	v_mul_f32_dpp v6, v154, v6 row_newbcast:2 row_mask:0xf bank_mask:0xf// 00000000A62C: 0A0C0CFA FF01529A
	v_mul_f32_dpp v7, v154, v7 row_newbcast:3 row_mask:0xf bank_mask:0xf// 00000000A634: 0A0E0EFA FF01539A
	v_pk_mul_f32 v[8:9], v[148:149], v[8:9]                    // 00000000A63C: D3B14008 18021194
	v_pk_mul_f32 v[10:11], v[148:149], v[10:11]                // 00000000A644: D3B1400A 18021594
	v_mul_f32_dpp v8, v154, v8 row_newbcast:4 row_mask:0xf bank_mask:0xf// 00000000A64C: 0A1010FA FF01549A
	v_mul_f32_dpp v9, v154, v9 row_newbcast:5 row_mask:0xf bank_mask:0xf// 00000000A654: 0A1212FA FF01559A
	v_mul_f32_dpp v10, v154, v10 row_newbcast:6 row_mask:0xf bank_mask:0xf// 00000000A65C: 0A1414FA FF01569A
	v_mul_f32_dpp v11, v154, v11 row_newbcast:7 row_mask:0xf bank_mask:0xf// 00000000A664: 0A1616FA FF01579A
	v_pk_mul_f32 v[12:13], v[148:149], v[12:13]                // 00000000A66C: D3B1400C 18021994
	v_pk_mul_f32 v[14:15], v[148:149], v[14:15]                // 00000000A674: D3B1400E 18021D94
	v_mul_f32_dpp v12, v154, v12 row_newbcast:8 row_mask:0xf bank_mask:0xf// 00000000A67C: 0A1818FA FF01589A
	v_mul_f32_dpp v13, v154, v13 row_newbcast:9 row_mask:0xf bank_mask:0xf// 00000000A684: 0A1A1AFA FF01599A
	v_mul_f32_dpp v14, v154, v14 row_newbcast:10 row_mask:0xf bank_mask:0xf// 00000000A68C: 0A1C1CFA FF015A9A
	v_mul_f32_dpp v15, v154, v15 row_newbcast:11 row_mask:0xf bank_mask:0xf// 00000000A694: 0A1E1EFA FF015B9A
	v_pk_mul_f32 v[16:17], v[148:149], v[16:17]                // 00000000A69C: D3B14010 18022194
	v_pk_mul_f32 v[18:19], v[148:149], v[18:19]                // 00000000A6A4: D3B14012 18022594
	v_mul_f32_dpp v16, v154, v16 row_newbcast:12 row_mask:0xf bank_mask:0xf// 00000000A6AC: 0A2020FA FF015C9A
	v_mul_f32_dpp v17, v154, v17 row_newbcast:13 row_mask:0xf bank_mask:0xf// 00000000A6B4: 0A2222FA FF015D9A
	v_mul_f32_dpp v18, v154, v18 row_newbcast:14 row_mask:0xf bank_mask:0xf// 00000000A6BC: 0A2424FA FF015E9A
	v_mul_f32_dpp v19, v154, v19 row_newbcast:15 row_mask:0xf bank_mask:0xf// 00000000A6C4: 0A2626FA FF015F9A
	v_pk_mul_f32 v[20:21], v[150:151], v[20:21]                // 00000000A6CC: D3B14014 18022996
	v_pk_mul_f32 v[22:23], v[150:151], v[22:23]                // 00000000A6D4: D3B14016 18022D96
	v_mul_f32_dpp v20, v154, v20 row_newbcast:0 row_mask:0xf bank_mask:0xf// 00000000A6DC: 0A2828FA FF01509A
	v_mul_f32_dpp v21, v154, v21 row_newbcast:1 row_mask:0xf bank_mask:0xf// 00000000A6E4: 0A2A2AFA FF01519A
	v_mul_f32_dpp v22, v154, v22 row_newbcast:2 row_mask:0xf bank_mask:0xf// 00000000A6EC: 0A2C2CFA FF01529A
	v_mul_f32_dpp v23, v154, v23 row_newbcast:3 row_mask:0xf bank_mask:0xf// 00000000A6F4: 0A2E2EFA FF01539A
	v_pk_mul_f32 v[24:25], v[150:151], v[24:25]                // 00000000A6FC: D3B14018 18023196
	v_pk_mul_f32 v[26:27], v[150:151], v[26:27]                // 00000000A704: D3B1401A 18023596
	v_mul_f32_dpp v24, v154, v24 row_newbcast:4 row_mask:0xf bank_mask:0xf// 00000000A70C: 0A3030FA FF01549A
	v_mul_f32_dpp v25, v154, v25 row_newbcast:5 row_mask:0xf bank_mask:0xf// 00000000A714: 0A3232FA FF01559A
	v_mul_f32_dpp v26, v154, v26 row_newbcast:6 row_mask:0xf bank_mask:0xf// 00000000A71C: 0A3434FA FF01569A
	v_mul_f32_dpp v27, v154, v27 row_newbcast:7 row_mask:0xf bank_mask:0xf// 00000000A724: 0A3636FA FF01579A
	v_pk_mul_f32 v[28:29], v[150:151], v[28:29]                // 00000000A72C: D3B1401C 18023996
	v_pk_mul_f32 v[30:31], v[150:151], v[30:31]                // 00000000A734: D3B1401E 18023D96
	v_mul_f32_dpp v28, v154, v28 row_newbcast:8 row_mask:0xf bank_mask:0xf// 00000000A73C: 0A3838FA FF01589A
	v_mul_f32_dpp v29, v154, v29 row_newbcast:9 row_mask:0xf bank_mask:0xf// 00000000A744: 0A3A3AFA FF01599A
	v_mul_f32_dpp v30, v154, v30 row_newbcast:10 row_mask:0xf bank_mask:0xf// 00000000A74C: 0A3C3CFA FF015A9A
	v_mul_f32_dpp v31, v154, v31 row_newbcast:11 row_mask:0xf bank_mask:0xf// 00000000A754: 0A3E3EFA FF015B9A
	v_pk_mul_f32 v[32:33], v[150:151], v[32:33]                // 00000000A75C: D3B14020 18024196
	v_pk_mul_f32 v[34:35], v[150:151], v[34:35]                // 00000000A764: D3B14022 18024596
	v_mul_f32_dpp v32, v154, v32 row_newbcast:12 row_mask:0xf bank_mask:0xf// 00000000A76C: 0A4040FA FF015C9A
	v_mul_f32_dpp v33, v154, v33 row_newbcast:13 row_mask:0xf bank_mask:0xf// 00000000A774: 0A4242FA FF015D9A
	v_mul_f32_dpp v34, v154, v34 row_newbcast:14 row_mask:0xf bank_mask:0xf// 00000000A77C: 0A4444FA FF015E9A
	v_mul_f32_dpp v35, v154, v35 row_newbcast:15 row_mask:0xf bank_mask:0xf// 00000000A784: 0A4646FA FF015F9A
	v_pk_mul_f32 v[36:37], v[152:153], v[36:37]                // 00000000A78C: D3B14024 18024998
	v_pk_mul_f32 v[38:39], v[152:153], v[38:39]                // 00000000A794: D3B14026 18024D98
	v_mul_f32_dpp v36, v154, v36 row_newbcast:0 row_mask:0xf bank_mask:0xf// 00000000A79C: 0A4848FA FF01509A
	v_mul_f32_dpp v37, v154, v37 row_newbcast:1 row_mask:0xf bank_mask:0xf// 00000000A7A4: 0A4A4AFA FF01519A
	v_mul_f32_dpp v38, v154, v38 row_newbcast:2 row_mask:0xf bank_mask:0xf// 00000000A7AC: 0A4C4CFA FF01529A
	v_mul_f32_dpp v39, v154, v39 row_newbcast:3 row_mask:0xf bank_mask:0xf// 00000000A7B4: 0A4E4EFA FF01539A
	v_pk_mul_f32 v[40:41], v[152:153], v[40:41]                // 00000000A7BC: D3B14028 18025198
	v_pk_mul_f32 v[42:43], v[152:153], v[42:43]                // 00000000A7C4: D3B1402A 18025598
	v_mul_f32_dpp v40, v154, v40 row_newbcast:4 row_mask:0xf bank_mask:0xf// 00000000A7CC: 0A5050FA FF01549A
	v_mul_f32_dpp v41, v154, v41 row_newbcast:5 row_mask:0xf bank_mask:0xf// 00000000A7D4: 0A5252FA FF01559A
	v_mul_f32_dpp v42, v154, v42 row_newbcast:6 row_mask:0xf bank_mask:0xf// 00000000A7DC: 0A5454FA FF01569A
	v_mul_f32_dpp v43, v154, v43 row_newbcast:7 row_mask:0xf bank_mask:0xf// 00000000A7E4: 0A5656FA FF01579A
	v_pk_mul_f32 v[44:45], v[152:153], v[44:45]                // 00000000A7EC: D3B1402C 18025998
	v_pk_mul_f32 v[46:47], v[152:153], v[46:47]                // 00000000A7F4: D3B1402E 18025D98
	v_mul_f32_dpp v44, v154, v44 row_newbcast:8 row_mask:0xf bank_mask:0xf// 00000000A7FC: 0A5858FA FF01589A
	v_mul_f32_dpp v45, v154, v45 row_newbcast:9 row_mask:0xf bank_mask:0xf// 00000000A804: 0A5A5AFA FF01599A
	v_mul_f32_dpp v46, v154, v46 row_newbcast:10 row_mask:0xf bank_mask:0xf// 00000000A80C: 0A5C5CFA FF015A9A
	v_mul_f32_dpp v47, v154, v47 row_newbcast:11 row_mask:0xf bank_mask:0xf// 00000000A814: 0A5E5EFA FF015B9A
	v_pk_mul_f32 v[48:49], v[152:153], v[48:49]                // 00000000A81C: D3B14030 18026198
	v_pk_mul_f32 v[50:51], v[152:153], v[50:51]                // 00000000A824: D3B14032 18026598
	v_mul_f32_dpp v48, v154, v48 row_newbcast:12 row_mask:0xf bank_mask:0xf// 00000000A82C: 0A6060FA FF015C9A
	v_mul_f32_dpp v49, v154, v49 row_newbcast:13 row_mask:0xf bank_mask:0xf// 00000000A834: 0A6262FA FF015D9A
	v_mul_f32_dpp v50, v154, v50 row_newbcast:14 row_mask:0xf bank_mask:0xf// 00000000A83C: 0A6464FA FF015E9A
	v_mul_f32_dpp v51, v154, v51 row_newbcast:15 row_mask:0xf bank_mask:0xf// 00000000A844: 0A6666FA FF015F9A
	v_mov_b32_e32 v182, v4                                     // 00000000A84C: 7F6C0304
	v_max3_f32 v182, v4, v5, v182                              // 00000000A850: D1D300B6 06DA0B04
	v_max3_f32 v182, v6, v7, v182                              // 00000000A858: D1D300B6 06DA0F06
	v_max3_f32 v182, v8, v9, v182                              // 00000000A860: D1D300B6 06DA1308
	v_max3_f32 v182, v10, v11, v182                            // 00000000A868: D1D300B6 06DA170A
	v_max3_f32 v182, v12, v13, v182                            // 00000000A870: D1D300B6 06DA1B0C
	v_max3_f32 v182, v14, v15, v182                            // 00000000A878: D1D300B6 06DA1F0E
	v_max3_f32 v182, v16, v17, v182                            // 00000000A880: D1D300B6 06DA2310
	v_max3_f32 v182, v18, v19, v182                            // 00000000A888: D1D300B6 06DA2712
	v_mov_b32_e32 v183, v20                                    // 00000000A890: 7F6E0314
	v_max3_f32 v183, v20, v21, v183                            // 00000000A894: D1D300B7 06DE2B14
	v_max3_f32 v183, v22, v23, v183                            // 00000000A89C: D1D300B7 06DE2F16
	v_max3_f32 v183, v24, v25, v183                            // 00000000A8A4: D1D300B7 06DE3318
	v_max3_f32 v183, v26, v27, v183                            // 00000000A8AC: D1D300B7 06DE371A
	v_max3_f32 v183, v28, v29, v183                            // 00000000A8B4: D1D300B7 06DE3B1C
	v_max3_f32 v183, v30, v31, v183                            // 00000000A8BC: D1D300B7 06DE3F1E
	v_max3_f32 v183, v32, v33, v183                            // 00000000A8C4: D1D300B7 06DE4320
	v_max3_f32 v183, v34, v35, v183                            // 00000000A8CC: D1D300B7 06DE4722
	v_mov_b32_e32 v184, v36                                    // 00000000A8D4: 7F700324
	v_max3_f32 v184, v36, v37, v184                            // 00000000A8D8: D1D300B8 06E24B24
	v_max3_f32 v184, v38, v39, v184                            // 00000000A8E0: D1D300B8 06E24F26
	v_max3_f32 v184, v40, v41, v184                            // 00000000A8E8: D1D300B8 06E25328
	v_max3_f32 v184, v42, v43, v184                            // 00000000A8F0: D1D300B8 06E2572A
	v_max3_f32 v184, v44, v45, v184                            // 00000000A8F8: D1D300B8 06E25B2C
	v_max3_f32 v184, v46, v47, v184                            // 00000000A900: D1D300B8 06E25F2E
	v_max3_f32 v184, v48, v49, v184                            // 00000000A908: D1D300B8 06E26330
	v_max3_f32 v184, v50, v51, v184                            // 00000000A910: D1D300B8 06E26732
	v_pk_mul_f32 v[124:125], v[170:171], v[124:125]            // 00000000A918: D3B1407C 1802F9AA
	v_pk_mul_f32 v[126:127], v[170:171], v[126:127]            // 00000000A920: D3B1407E 1802FDAA
	v_pk_mul_f32 v[128:129], v[170:171], v[128:129]            // 00000000A928: D3B14080 180301AA
	v_pk_mul_f32 v[130:131], v[170:171], v[130:131]            // 00000000A930: D3B14082 180305AA
	v_pk_mul_f32 v[132:133], v[172:173], v[132:133]            // 00000000A938: D3B14084 180309AC
	v_pk_mul_f32 v[134:135], v[172:173], v[134:135]            // 00000000A940: D3B14086 18030DAC
	v_pk_mul_f32 v[136:137], v[172:173], v[136:137]            // 00000000A948: D3B14088 180311AC
	v_pk_mul_f32 v[138:139], v[172:173], v[138:139]            // 00000000A950: D3B1408A 180315AC
	v_pk_mul_f32 v[140:141], v[174:175], v[140:141]            // 00000000A958: D3B1408C 180319AE
	v_pk_mul_f32 v[142:143], v[174:175], v[142:143]            // 00000000A960: D3B1408E 18031DAE
	v_pk_mul_f32 v[144:145], v[174:175], v[144:145]            // 00000000A968: D3B14090 180321AE
	v_pk_mul_f32 v[146:147], v[174:175], v[146:147]            // 00000000A970: D3B14092 180325AE
	ds_bpermute_b32 v188, v208, v182                           // 00000000A978: D87E0000 BC00B6D0
	ds_bpermute_b32 v189, v209, v182                           // 00000000A980: D87E0000 BD00B6D1
	ds_bpermute_b32 v190, v210, v182                           // 00000000A988: D87E0000 BE00B6D2
	ds_bpermute_b32 v191, v208, v183                           // 00000000A990: D87E0000 BF00B7D0
	ds_bpermute_b32 v192, v209, v183                           // 00000000A998: D87E0000 C000B7D1
	ds_bpermute_b32 v193, v210, v183                           // 00000000A9A0: D87E0000 C100B7D2
	ds_bpermute_b32 v194, v208, v184                           // 00000000A9A8: D87E0000 C200B8D0
	ds_bpermute_b32 v195, v209, v184                           // 00000000A9B0: D87E0000 C300B8D1
	ds_bpermute_b32 v196, v210, v184                           // 00000000A9B8: D87E0000 C400B8D2
	s_waitcnt lgkmcnt(6)                                       // 00000000A9C0: BF8CC67F
	v_max3_f32 v182, v188, v189, v182                          // 00000000A9C4: D1D300B6 06DB7BBC
	v_max_f32_e32 v182, v190, v182                             // 00000000A9CC: 176D6DBE
	s_waitcnt lgkmcnt(3)                                       // 00000000A9D0: BF8CC37F
	v_max3_f32 v183, v191, v192, v183                          // 00000000A9D4: D1D300B7 06DF81BF
	v_max_f32_e32 v183, v193, v183                             // 00000000A9DC: 176F6FC1
	s_waitcnt lgkmcnt(0)                                       // 00000000A9E0: BF8CC07F
	v_max3_f32 v184, v194, v195, v184                          // 00000000A9E4: D1D300B8 06E387C2
	v_max_f32_e32 v184, v196, v184                             // 00000000A9EC: 177171C4
	ds_write_b128 v249, v[182:185]                             // 00000000A9F0: D9BE0000 0000B6F9
	s_waitcnt lgkmcnt(0)                                       // 00000000A9F8: BF8CC07F
	s_barrier                                                  // 00000000A9FC: BF8A0000
	v_pk_mul_f32 v[100:101], v[158:159], v[100:101]            // 00000000AA00: D3B14064 1802C99E
	v_pk_mul_f32 v[102:103], v[158:159], v[102:103]            // 00000000AA08: D3B14066 1802CD9E
	v_pk_mul_f32 v[104:105], v[158:159], v[104:105]            // 00000000AA10: D3B14068 1802D19E
	v_pk_mul_f32 v[106:107], v[158:159], v[106:107]            // 00000000AA18: D3B1406A 1802D59E
	v_pk_mul_f32 v[108:109], v[160:161], v[108:109]            // 00000000AA20: D3B1406C 1802D9A0
	v_pk_mul_f32 v[110:111], v[160:161], v[110:111]            // 00000000AA28: D3B1406E 1802DDA0
	v_pk_mul_f32 v[112:113], v[160:161], v[112:113]            // 00000000AA30: D3B14070 1802E1A0
	v_pk_mul_f32 v[114:115], v[160:161], v[114:115]            // 00000000AA38: D3B14072 1802E5A0
	v_pk_mul_f32 v[116:117], v[162:163], v[116:117]            // 00000000AA40: D3B14074 1802E9A2
	v_pk_mul_f32 v[118:119], v[162:163], v[118:119]            // 00000000AA48: D3B14076 1802EDA2
	v_pk_mul_f32 v[120:121], v[162:163], v[120:121]            // 00000000AA50: D3B14078 1802F1A2
	v_pk_mul_f32 v[122:123], v[162:163], v[122:123]            // 00000000AA58: D3B1407A 1802F5A2
	ds_read_b128 v[188:191], v250                              // 00000000AA60: D9FE0000 BC0000FA
	ds_read_b128 v[192:195], v250 offset:256                   // 00000000AA68: D9FE0100 C00000FA
	ds_read_b128 v[196:199], v250 offset:512                   // 00000000AA70: D9FE0200 C40000FA
	ds_read_b128 v[200:203], v250 offset:768                   // 00000000AA78: D9FE0300 C80000FA
	s_waitcnt lgkmcnt(0)                                       // 00000000AA80: BF8CC07F
	v_max3_f32 v182, v188, v192, v182                          // 00000000AA84: D1D300B6 06DB81BC
	v_max3_f32 v183, v189, v193, v183                          // 00000000AA8C: D1D300B7 06DF83BD
	v_max3_f32 v184, v190, v194, v184                          // 00000000AA94: D1D300B8 06E385BE
	v_max3_f32 v182, v196, v200, v182                          // 00000000AA9C: D1D300B6 06DB91C4
	v_max3_f32 v183, v197, v201, v183                          // 00000000AAA4: D1D300B7 06DF93C5
	v_max3_f32 v184, v198, v202, v184                          // 00000000AAAC: D1D300B8 06E395C6
	v_max_f32_e32 v167, v182, v164                             // 00000000AAB4: 174F49B6
	v_mul_f32_e64 v204, -s46, v167                             // 00000000AAB8: D10500CC 20034E2E
	v_mov_b32_e32 v205, v204                                   // 00000000AAC0: 7F9A03CC
	v_pk_fma_f32 v[4:5], v[4:5], s[46:47], v[204:205]          // 00000000AAC4: D3B04004 1F305D04
	v_pk_fma_f32 v[6:7], v[6:7], s[46:47], v[204:205]          // 00000000AACC: D3B04006 1F305D06
	v_exp_f32_e32 v4, v4                                       // 00000000AAD4: 7E084104
	v_exp_f32_e32 v5, v5                                       // 00000000AAD8: 7E0A4105
	v_exp_f32_e32 v6, v6                                       // 00000000AADC: 7E0C4106
	v_exp_f32_e32 v7, v7                                       // 00000000AAE0: 7E0E4107
	v_pk_fma_f32 v[8:9], v[8:9], s[46:47], v[204:205]          // 00000000AAE4: D3B04008 1F305D08
	v_pk_fma_f32 v[10:11], v[10:11], s[46:47], v[204:205]      // 00000000AAEC: D3B0400A 1F305D0A
	v_exp_f32_e32 v8, v8                                       // 00000000AAF4: 7E104108
	v_exp_f32_e32 v9, v9                                       // 00000000AAF8: 7E124109
	v_exp_f32_e32 v10, v10                                     // 00000000AAFC: 7E14410A
	v_exp_f32_e32 v11, v11                                     // 00000000AB00: 7E16410B
	v_pk_fma_f32 v[12:13], v[12:13], s[46:47], v[204:205]      // 00000000AB04: D3B0400C 1F305D0C
	v_pk_fma_f32 v[14:15], v[14:15], s[46:47], v[204:205]      // 00000000AB0C: D3B0400E 1F305D0E
	v_exp_f32_e32 v12, v12                                     // 00000000AB14: 7E18410C
	v_exp_f32_e32 v13, v13                                     // 00000000AB18: 7E1A410D
	v_exp_f32_e32 v14, v14                                     // 00000000AB1C: 7E1C410E
	v_exp_f32_e32 v15, v15                                     // 00000000AB20: 7E1E410F
	v_pk_fma_f32 v[16:17], v[16:17], s[46:47], v[204:205]      // 00000000AB24: D3B04010 1F305D10
	v_pk_fma_f32 v[18:19], v[18:19], s[46:47], v[204:205]      // 00000000AB2C: D3B04012 1F305D12
	v_exp_f32_e32 v16, v16                                     // 00000000AB34: 7E204110
	v_exp_f32_e32 v17, v17                                     // 00000000AB38: 7E224111
	v_exp_f32_e32 v18, v18                                     // 00000000AB3C: 7E244112
	v_exp_f32_e32 v19, v19                                     // 00000000AB40: 7E264113
	v_max_f32_e32 v168, v183, v165                             // 00000000AB44: 17514BB7
	v_mul_f32_e64 v204, -s46, v168                             // 00000000AB48: D10500CC 2003502E
	v_mov_b32_e32 v205, v204                                   // 00000000AB50: 7F9A03CC
	v_pk_fma_f32 v[20:21], v[20:21], s[46:47], v[204:205]      // 00000000AB54: D3B04014 1F305D14
	v_pk_fma_f32 v[22:23], v[22:23], s[46:47], v[204:205]      // 00000000AB5C: D3B04016 1F305D16
	v_exp_f32_e32 v20, v20                                     // 00000000AB64: 7E284114
	v_exp_f32_e32 v21, v21                                     // 00000000AB68: 7E2A4115
	v_exp_f32_e32 v22, v22                                     // 00000000AB6C: 7E2C4116
	v_exp_f32_e32 v23, v23                                     // 00000000AB70: 7E2E4117
	v_pk_fma_f32 v[24:25], v[24:25], s[46:47], v[204:205]      // 00000000AB74: D3B04018 1F305D18
	v_pk_fma_f32 v[26:27], v[26:27], s[46:47], v[204:205]      // 00000000AB7C: D3B0401A 1F305D1A
	v_exp_f32_e32 v24, v24                                     // 00000000AB84: 7E304118
	v_exp_f32_e32 v25, v25                                     // 00000000AB88: 7E324119
	v_exp_f32_e32 v26, v26                                     // 00000000AB8C: 7E34411A
	v_exp_f32_e32 v27, v27                                     // 00000000AB90: 7E36411B
	v_pk_fma_f32 v[28:29], v[28:29], s[46:47], v[204:205]      // 00000000AB94: D3B0401C 1F305D1C
	v_pk_fma_f32 v[30:31], v[30:31], s[46:47], v[204:205]      // 00000000AB9C: D3B0401E 1F305D1E
	v_exp_f32_e32 v28, v28                                     // 00000000ABA4: 7E38411C
	v_exp_f32_e32 v29, v29                                     // 00000000ABA8: 7E3A411D
	v_exp_f32_e32 v30, v30                                     // 00000000ABAC: 7E3C411E
	v_exp_f32_e32 v31, v31                                     // 00000000ABB0: 7E3E411F
	v_pk_fma_f32 v[32:33], v[32:33], s[46:47], v[204:205]      // 00000000ABB4: D3B04020 1F305D20
	v_pk_fma_f32 v[34:35], v[34:35], s[46:47], v[204:205]      // 00000000ABBC: D3B04022 1F305D22
	v_exp_f32_e32 v32, v32                                     // 00000000ABC4: 7E404120
	v_exp_f32_e32 v33, v33                                     // 00000000ABC8: 7E424121
	v_exp_f32_e32 v34, v34                                     // 00000000ABCC: 7E444122
	v_exp_f32_e32 v35, v35                                     // 00000000ABD0: 7E464123
	v_max_f32_e32 v169, v184, v166                             // 00000000ABD4: 17534DB8
	v_mul_f32_e64 v204, -s46, v169                             // 00000000ABD8: D10500CC 2003522E
	v_mov_b32_e32 v205, v204                                   // 00000000ABE0: 7F9A03CC
	v_pk_fma_f32 v[36:37], v[36:37], s[46:47], v[204:205]      // 00000000ABE4: D3B04024 1F305D24
	v_pk_fma_f32 v[38:39], v[38:39], s[46:47], v[204:205]      // 00000000ABEC: D3B04026 1F305D26
	v_exp_f32_e32 v36, v36                                     // 00000000ABF4: 7E484124
	v_exp_f32_e32 v37, v37                                     // 00000000ABF8: 7E4A4125
	v_exp_f32_e32 v38, v38                                     // 00000000ABFC: 7E4C4126
	v_exp_f32_e32 v39, v39                                     // 00000000AC00: 7E4E4127
	v_pk_fma_f32 v[40:41], v[40:41], s[46:47], v[204:205]      // 00000000AC04: D3B04028 1F305D28
	v_pk_fma_f32 v[42:43], v[42:43], s[46:47], v[204:205]      // 00000000AC0C: D3B0402A 1F305D2A
	v_exp_f32_e32 v40, v40                                     // 00000000AC14: 7E504128
	v_exp_f32_e32 v41, v41                                     // 00000000AC18: 7E524129
	v_exp_f32_e32 v42, v42                                     // 00000000AC1C: 7E54412A
	v_exp_f32_e32 v43, v43                                     // 00000000AC20: 7E56412B
	v_pk_fma_f32 v[44:45], v[44:45], s[46:47], v[204:205]      // 00000000AC24: D3B0402C 1F305D2C
	v_pk_fma_f32 v[46:47], v[46:47], s[46:47], v[204:205]      // 00000000AC2C: D3B0402E 1F305D2E
	v_exp_f32_e32 v44, v44                                     // 00000000AC34: 7E58412C
	v_exp_f32_e32 v45, v45                                     // 00000000AC38: 7E5A412D
	v_exp_f32_e32 v46, v46                                     // 00000000AC3C: 7E5C412E
	v_exp_f32_e32 v47, v47                                     // 00000000AC40: 7E5E412F
	v_pk_fma_f32 v[48:49], v[48:49], s[46:47], v[204:205]      // 00000000AC44: D3B04030 1F305D30
	v_pk_fma_f32 v[50:51], v[50:51], s[46:47], v[204:205]      // 00000000AC4C: D3B04032 1F305D32
	v_exp_f32_e32 v48, v48                                     // 00000000AC54: 7E604130
	v_exp_f32_e32 v49, v49                                     // 00000000AC58: 7E624131
	v_exp_f32_e32 v50, v50                                     // 00000000AC5C: 7E644132
	v_exp_f32_e32 v51, v51                                     // 00000000AC60: 7E664133
	v_mul_f32_dpp v52, v156, v4 row_newbcast:0 row_mask:0xf bank_mask:0xf// 00000000AC64: 0A6808FA FF01509C
	v_mul_f32_dpp v53, v156, v5 row_newbcast:1 row_mask:0xf bank_mask:0xf// 00000000AC6C: 0A6A0AFA FF01519C
	v_mul_f32_dpp v54, v156, v6 row_newbcast:2 row_mask:0xf bank_mask:0xf// 00000000AC74: 0A6C0CFA FF01529C
	v_mul_f32_dpp v55, v156, v7 row_newbcast:3 row_mask:0xf bank_mask:0xf// 00000000AC7C: 0A6E0EFA FF01539C
	v_mul_f32_dpp v56, v156, v8 row_newbcast:4 row_mask:0xf bank_mask:0xf// 00000000AC84: 0A7010FA FF01549C
	v_mul_f32_dpp v57, v156, v9 row_newbcast:5 row_mask:0xf bank_mask:0xf// 00000000AC8C: 0A7212FA FF01559C
	v_mul_f32_dpp v58, v156, v10 row_newbcast:6 row_mask:0xf bank_mask:0xf// 00000000AC94: 0A7414FA FF01569C
	v_mul_f32_dpp v59, v156, v11 row_newbcast:7 row_mask:0xf bank_mask:0xf// 00000000AC9C: 0A7616FA FF01579C
	v_mul_f32_dpp v60, v156, v12 row_newbcast:8 row_mask:0xf bank_mask:0xf// 00000000ACA4: 0A7818FA FF01589C
	v_mul_f32_dpp v61, v156, v13 row_newbcast:9 row_mask:0xf bank_mask:0xf// 00000000ACAC: 0A7A1AFA FF01599C
	v_mul_f32_dpp v62, v156, v14 row_newbcast:10 row_mask:0xf bank_mask:0xf// 00000000ACB4: 0A7C1CFA FF015A9C
	v_mul_f32_dpp v63, v156, v15 row_newbcast:11 row_mask:0xf bank_mask:0xf// 00000000ACBC: 0A7E1EFA FF015B9C
	v_mul_f32_dpp v64, v156, v16 row_newbcast:12 row_mask:0xf bank_mask:0xf// 00000000ACC4: 0A8020FA FF015C9C
	v_mul_f32_dpp v65, v156, v17 row_newbcast:13 row_mask:0xf bank_mask:0xf// 00000000ACCC: 0A8222FA FF015D9C
	v_mul_f32_dpp v66, v156, v18 row_newbcast:14 row_mask:0xf bank_mask:0xf// 00000000ACD4: 0A8424FA FF015E9C
	v_mul_f32_dpp v67, v156, v19 row_newbcast:15 row_mask:0xf bank_mask:0xf// 00000000ACDC: 0A8626FA FF015F9C
	v_mul_f32_dpp v68, v156, v20 row_newbcast:0 row_mask:0xf bank_mask:0xf// 00000000ACE4: 0A8828FA FF01509C
	v_mul_f32_dpp v69, v156, v21 row_newbcast:1 row_mask:0xf bank_mask:0xf// 00000000ACEC: 0A8A2AFA FF01519C
	v_mul_f32_dpp v70, v156, v22 row_newbcast:2 row_mask:0xf bank_mask:0xf// 00000000ACF4: 0A8C2CFA FF01529C
	v_mul_f32_dpp v71, v156, v23 row_newbcast:3 row_mask:0xf bank_mask:0xf// 00000000ACFC: 0A8E2EFA FF01539C
	v_mul_f32_dpp v72, v156, v24 row_newbcast:4 row_mask:0xf bank_mask:0xf// 00000000AD04: 0A9030FA FF01549C
	v_mul_f32_dpp v73, v156, v25 row_newbcast:5 row_mask:0xf bank_mask:0xf// 00000000AD0C: 0A9232FA FF01559C
	v_mul_f32_dpp v74, v156, v26 row_newbcast:6 row_mask:0xf bank_mask:0xf// 00000000AD14: 0A9434FA FF01569C
	v_mul_f32_dpp v75, v156, v27 row_newbcast:7 row_mask:0xf bank_mask:0xf// 00000000AD1C: 0A9636FA FF01579C
	v_mul_f32_dpp v76, v156, v28 row_newbcast:8 row_mask:0xf bank_mask:0xf// 00000000AD24: 0A9838FA FF01589C
	v_mul_f32_dpp v77, v156, v29 row_newbcast:9 row_mask:0xf bank_mask:0xf// 00000000AD2C: 0A9A3AFA FF01599C
	v_mul_f32_dpp v78, v156, v30 row_newbcast:10 row_mask:0xf bank_mask:0xf// 00000000AD34: 0A9C3CFA FF015A9C
	v_mul_f32_dpp v79, v156, v31 row_newbcast:11 row_mask:0xf bank_mask:0xf// 00000000AD3C: 0A9E3EFA FF015B9C
	v_mul_f32_dpp v80, v156, v32 row_newbcast:12 row_mask:0xf bank_mask:0xf// 00000000AD44: 0AA040FA FF015C9C
	v_mul_f32_dpp v81, v156, v33 row_newbcast:13 row_mask:0xf bank_mask:0xf// 00000000AD4C: 0AA242FA FF015D9C
	v_mul_f32_dpp v82, v156, v34 row_newbcast:14 row_mask:0xf bank_mask:0xf// 00000000AD54: 0AA444FA FF015E9C
	v_mul_f32_dpp v83, v156, v35 row_newbcast:15 row_mask:0xf bank_mask:0xf// 00000000AD5C: 0AA646FA FF015F9C
	v_mul_f32_dpp v84, v156, v36 row_newbcast:0 row_mask:0xf bank_mask:0xf// 00000000AD64: 0AA848FA FF01509C
	v_mul_f32_dpp v85, v156, v37 row_newbcast:1 row_mask:0xf bank_mask:0xf// 00000000AD6C: 0AAA4AFA FF01519C
	v_mul_f32_dpp v86, v156, v38 row_newbcast:2 row_mask:0xf bank_mask:0xf// 00000000AD74: 0AAC4CFA FF01529C
	v_mul_f32_dpp v87, v156, v39 row_newbcast:3 row_mask:0xf bank_mask:0xf// 00000000AD7C: 0AAE4EFA FF01539C
	v_mul_f32_dpp v88, v156, v40 row_newbcast:4 row_mask:0xf bank_mask:0xf// 00000000AD84: 0AB050FA FF01549C
	v_mul_f32_dpp v89, v156, v41 row_newbcast:5 row_mask:0xf bank_mask:0xf// 00000000AD8C: 0AB252FA FF01559C
	v_mul_f32_dpp v90, v156, v42 row_newbcast:6 row_mask:0xf bank_mask:0xf// 00000000AD94: 0AB454FA FF01569C
	v_mul_f32_dpp v91, v156, v43 row_newbcast:7 row_mask:0xf bank_mask:0xf// 00000000AD9C: 0AB656FA FF01579C
	v_mul_f32_dpp v92, v156, v44 row_newbcast:8 row_mask:0xf bank_mask:0xf// 00000000ADA4: 0AB858FA FF01589C
	v_mul_f32_dpp v93, v156, v45 row_newbcast:9 row_mask:0xf bank_mask:0xf// 00000000ADAC: 0ABA5AFA FF01599C
	v_mul_f32_dpp v94, v156, v46 row_newbcast:10 row_mask:0xf bank_mask:0xf// 00000000ADB4: 0ABC5CFA FF015A9C
	v_mul_f32_dpp v95, v156, v47 row_newbcast:11 row_mask:0xf bank_mask:0xf// 00000000ADBC: 0ABE5EFA FF015B9C
	v_mul_f32_dpp v96, v156, v48 row_newbcast:12 row_mask:0xf bank_mask:0xf// 00000000ADC4: 0AC060FA FF015C9C
	v_mul_f32_dpp v97, v156, v49 row_newbcast:13 row_mask:0xf bank_mask:0xf// 00000000ADCC: 0AC262FA FF015D9C
	v_mul_f32_dpp v98, v156, v50 row_newbcast:14 row_mask:0xf bank_mask:0xf// 00000000ADD4: 0AC464FA FF015E9C
	v_mul_f32_dpp v99, v156, v51 row_newbcast:15 row_mask:0xf bank_mask:0xf// 00000000ADDC: 0AC666FA FF015F9C
	v_mov_b32_e32 v182, 0x358637bd                             // 00000000ADE4: 7F6C02FF 358637BD
	v_max3_f32 v182, |v52|, |v53|, v182                        // 00000000ADEC: D1D303B6 06DA6B34
	v_max3_f32 v182, |v54|, |v55|, v182                        // 00000000ADF4: D1D303B6 06DA6F36
	v_max3_f32 v182, |v56|, |v57|, v182                        // 00000000ADFC: D1D303B6 06DA7338
	v_max3_f32 v182, |v58|, |v59|, v182                        // 00000000AE04: D1D303B6 06DA773A
	v_max3_f32 v182, |v60|, |v61|, v182                        // 00000000AE0C: D1D303B6 06DA7B3C
	v_max3_f32 v182, |v62|, |v63|, v182                        // 00000000AE14: D1D303B6 06DA7F3E
	v_max3_f32 v182, |v64|, |v65|, v182                        // 00000000AE1C: D1D303B6 06DA8340
	v_max3_f32 v182, |v66|, |v67|, v182                        // 00000000AE24: D1D303B6 06DA8742
	v_mov_b32_e32 v183, 0x358637bd                             // 00000000AE2C: 7F6E02FF 358637BD
	v_max3_f32 v183, |v68|, |v69|, v183                        // 00000000AE34: D1D303B7 06DE8B44
	v_max3_f32 v183, |v70|, |v71|, v183                        // 00000000AE3C: D1D303B7 06DE8F46
	v_max3_f32 v183, |v72|, |v73|, v183                        // 00000000AE44: D1D303B7 06DE9348
	v_max3_f32 v183, |v74|, |v75|, v183                        // 00000000AE4C: D1D303B7 06DE974A
	v_max3_f32 v183, |v76|, |v77|, v183                        // 00000000AE54: D1D303B7 06DE9B4C
	v_max3_f32 v183, |v78|, |v79|, v183                        // 00000000AE5C: D1D303B7 06DE9F4E
	v_max3_f32 v183, |v80|, |v81|, v183                        // 00000000AE64: D1D303B7 06DEA350
	v_max3_f32 v183, |v82|, |v83|, v183                        // 00000000AE6C: D1D303B7 06DEA752
	v_mov_b32_e32 v184, 0x358637bd                             // 00000000AE74: 7F7002FF 358637BD
	v_max3_f32 v184, |v84|, |v85|, v184                        // 00000000AE7C: D1D303B8 06E2AB54
	v_max3_f32 v184, |v86|, |v87|, v184                        // 00000000AE84: D1D303B8 06E2AF56
	v_max3_f32 v184, |v88|, |v89|, v184                        // 00000000AE8C: D1D303B8 06E2B358
	v_max3_f32 v184, |v90|, |v91|, v184                        // 00000000AE94: D1D303B8 06E2B75A
	v_max3_f32 v184, |v92|, |v93|, v184                        // 00000000AE9C: D1D303B8 06E2BB5C
	v_max3_f32 v184, |v94|, |v95|, v184                        // 00000000AEA4: D1D303B8 06E2BF5E
	v_max3_f32 v184, |v96|, |v97|, v184                        // 00000000AEAC: D1D303B8 06E2C360
	v_max3_f32 v184, |v98|, |v99|, v184                        // 00000000AEB4: D1D303B8 06E2C762
	ds_bpermute_b32 v188, v208, v182                           // 00000000AEBC: D87E0000 BC00B6D0
	ds_bpermute_b32 v189, v209, v182                           // 00000000AEC4: D87E0000 BD00B6D1
	ds_bpermute_b32 v190, v210, v182                           // 00000000AECC: D87E0000 BE00B6D2
	ds_bpermute_b32 v191, v208, v183                           // 00000000AED4: D87E0000 BF00B7D0
	ds_bpermute_b32 v192, v209, v183                           // 00000000AEDC: D87E0000 C000B7D1
	ds_bpermute_b32 v193, v210, v183                           // 00000000AEE4: D87E0000 C100B7D2
	ds_bpermute_b32 v194, v208, v184                           // 00000000AEEC: D87E0000 C200B8D0
	ds_bpermute_b32 v195, v209, v184                           // 00000000AEF4: D87E0000 C300B8D1
	ds_bpermute_b32 v196, v210, v184                           // 00000000AEFC: D87E0000 C400B8D2
	s_waitcnt lgkmcnt(6)                                       // 00000000AF04: BF8CC67F
	v_max3_f32 v182, v188, v189, v182                          // 00000000AF08: D1D300B6 06DB7BBC
	v_max_f32_e32 v182, v190, v182                             // 00000000AF10: 176D6DBE
	s_waitcnt lgkmcnt(3)                                       // 00000000AF14: BF8CC37F
	v_max3_f32 v183, v191, v192, v183                          // 00000000AF18: D1D300B7 06DF81BF
	v_max_f32_e32 v183, v193, v183                             // 00000000AF20: 176F6FC1
	s_waitcnt lgkmcnt(0)                                       // 00000000AF24: BF8CC07F
	v_max3_f32 v184, v194, v195, v184                          // 00000000AF28: D1D300B8 06E387C2
	v_max_f32_e32 v184, v196, v184                             // 00000000AF30: 177171C4
	ds_write_b128 v249, v[182:185] offset:4096                 // 00000000AF34: D9BE1000 0000B6F9
	buffer_load_dword v155, v235, s[20:23], 0 offen            // 00000000AF3C: E0501000 80059BEB
	v_sub_f32_e32 v170, v164, v167                             // 00000000AF44: 05554FA4
	v_cmp_eq_u32_e64 s[98:99], v222, v164                      // 00000000AF48: D0CA0062 000349DE
	v_cndmask_b32_e64 v170, v170, 0, s[98:99]                  // 00000000AF50: D10000AA 018901AA
	v_mov_b32_e32 v164, v167                                   // 00000000AF58: 7F4803A7
	v_mul_f32_e32 v170, s46, v170                              // 00000000AF5C: 0B55542E
	v_exp_f32_e32 v170, v170                                   // 00000000AF60: 7F5441AA
	v_sub_f32_e32 v172, v165, v168                             // 00000000AF64: 055951A5
	v_cmp_eq_u32_e64 s[98:99], v222, v165                      // 00000000AF68: D0CA0062 00034BDE
	v_cndmask_b32_e64 v172, v172, 0, s[98:99]                  // 00000000AF70: D10000AC 018901AC
	v_mov_b32_e32 v165, v168                                   // 00000000AF78: 7F4A03A8
	v_mul_f32_e32 v172, s46, v172                              // 00000000AF7C: 0B59582E
	v_exp_f32_e32 v172, v172                                   // 00000000AF80: 7F5841AC
	v_sub_f32_e32 v174, v166, v169                             // 00000000AF84: 055D53A6
	v_cmp_eq_u32_e64 s[98:99], v222, v166                      // 00000000AF88: D0CA0062 00034DDE
	v_cndmask_b32_e64 v174, v174, 0, s[98:99]                  // 00000000AF90: D10000AE 018901AE
	v_mov_b32_e32 v166, v169                                   // 00000000AF98: 7F4C03A9
	v_mul_f32_e32 v174, s46, v174                              // 00000000AF9C: 0B5D5C2E
	v_exp_f32_e32 v174, v174                                   // 00000000AFA0: 7F5C41AE
	v_mov_b32_e32 v171, v170                                   // 00000000AFA4: 7F5603AA
	v_mov_b32_e32 v173, v172                                   // 00000000AFA8: 7F5A03AC
	v_mov_b32_e32 v175, v174                                   // 00000000AFAC: 7F5E03AE
	s_waitcnt lgkmcnt(0)                                       // 00000000AFB0: BF8CC07F
	s_barrier                                                  // 00000000AFB4: BF8A0000
	buffer_load_dword v157, v236, s[24:27], 0 offen            // 00000000AFB8: E0501000 80069DEC
	v_mul_f32_e32 v176, v170, v176                             // 00000000AFC0: 0B6161AA
	v_mov_b32_e32 v177, 0                                      // 00000000AFC4: 7F620280
	v_pk_add_f32 v[176:177], v[4:5], v[176:177]                // 00000000AFC8: D3B240B0 18036104
	v_pk_add_f32 v[176:177], v[6:7], v[176:177]                // 00000000AFD0: D3B240B0 18036106
	v_pk_add_f32 v[176:177], v[8:9], v[176:177]                // 00000000AFD8: D3B240B0 18036108
	v_pk_add_f32 v[176:177], v[10:11], v[176:177]              // 00000000AFE0: D3B240B0 1803610A
	v_pk_add_f32 v[176:177], v[12:13], v[176:177]              // 00000000AFE8: D3B240B0 1803610C
	v_pk_add_f32 v[176:177], v[14:15], v[176:177]              // 00000000AFF0: D3B240B0 1803610E
	v_pk_add_f32 v[176:177], v[16:17], v[176:177]              // 00000000AFF8: D3B240B0 18036110
	v_pk_add_f32 v[176:177], v[18:19], v[176:177]              // 00000000B000: D3B240B0 18036112
	v_add_f32_e32 v176, v177, v176                             // 00000000B008: 036161B1
	v_mul_f32_e32 v178, v172, v178                             // 00000000B00C: 0B6565AC
	v_mov_b32_e32 v179, 0                                      // 00000000B010: 7F660280
	v_pk_add_f32 v[178:179], v[20:21], v[178:179]              // 00000000B014: D3B240B2 18036514
	v_pk_add_f32 v[178:179], v[22:23], v[178:179]              // 00000000B01C: D3B240B2 18036516
	v_pk_add_f32 v[178:179], v[24:25], v[178:179]              // 00000000B024: D3B240B2 18036518
	v_pk_add_f32 v[178:179], v[26:27], v[178:179]              // 00000000B02C: D3B240B2 1803651A
	v_pk_add_f32 v[178:179], v[28:29], v[178:179]              // 00000000B034: D3B240B2 1803651C
	v_pk_add_f32 v[178:179], v[30:31], v[178:179]              // 00000000B03C: D3B240B2 1803651E
	v_pk_add_f32 v[178:179], v[32:33], v[178:179]              // 00000000B044: D3B240B2 18036520
	v_pk_add_f32 v[178:179], v[34:35], v[178:179]              // 00000000B04C: D3B240B2 18036522
	v_add_f32_e32 v178, v179, v178                             // 00000000B054: 036565B3
	v_mul_f32_e32 v180, v174, v180                             // 00000000B058: 0B6969AE
	v_mov_b32_e32 v181, 0                                      // 00000000B05C: 7F6A0280
	v_pk_add_f32 v[180:181], v[36:37], v[180:181]              // 00000000B060: D3B240B4 18036924
	v_pk_add_f32 v[180:181], v[38:39], v[180:181]              // 00000000B068: D3B240B4 18036926
	v_pk_add_f32 v[180:181], v[40:41], v[180:181]              // 00000000B070: D3B240B4 18036928
	v_pk_add_f32 v[180:181], v[42:43], v[180:181]              // 00000000B078: D3B240B4 1803692A
	v_pk_add_f32 v[180:181], v[44:45], v[180:181]              // 00000000B080: D3B240B4 1803692C
	v_pk_add_f32 v[180:181], v[46:47], v[180:181]              // 00000000B088: D3B240B4 1803692E
	v_pk_add_f32 v[180:181], v[48:49], v[180:181]              // 00000000B090: D3B240B4 18036930
	v_pk_add_f32 v[180:181], v[50:51], v[180:181]              // 00000000B098: D3B240B4 18036932
	v_add_f32_e32 v180, v181, v180                             // 00000000B0A0: 036969B5
	ds_read_b128 v[188:191], v250 offset:4096                  // 00000000B0A4: D9FE1000 BC0000FA
	ds_read_b128 v[192:195], v250 offset:4352                  // 00000000B0AC: D9FE1100 C00000FA
	ds_read_b128 v[196:199], v250 offset:4608                  // 00000000B0B4: D9FE1200 C40000FA
	ds_read_b128 v[200:203], v250 offset:4864                  // 00000000B0BC: D9FE1300 C80000FA
	s_waitcnt lgkmcnt(0)                                       // 00000000B0C4: BF8CC07F
	v_max3_f32 v182, v188, v192, v182                          // 00000000B0C8: D1D300B6 06DB81BC
	v_max3_f32 v183, v189, v193, v183                          // 00000000B0D0: D1D300B7 06DF83BD
	v_max3_f32 v184, v190, v194, v184                          // 00000000B0D8: D1D300B8 06E385BE
	v_max3_f32 v182, v196, v200, v182                          // 00000000B0E0: D1D300B6 06DB91C4
	v_max3_f32 v183, v197, v201, v183                          // 00000000B0E8: D1D300B7 06DF93C5
	v_max3_f32 v184, v198, v202, v184                          // 00000000B0F0: D1D300B8 06E395C6
	v_rcp_f32_e32 v182, v182                                   // 00000000B0F8: 7F6C45B6
	v_rcp_f32_e32 v183, v183                                   // 00000000B0FC: 7F6E45B7
	v_rcp_f32_e32 v184, v184                                   // 00000000B100: 7F7045B8
	v_mul_f32_e32 v182, 0x43700000, v182                       // 00000000B104: 0B6D6CFF 43700000
	v_mul_f32_e32 v183, 0x43700000, v183                       // 00000000B10C: 0B6F6EFF 43700000
	v_mul_f32_e32 v184, 0x43700000, v184                       // 00000000B114: 0B7170FF 43700000
	v_mov_b32_e32 v186, v184                                   // 00000000B11C: 7F7403B8
	v_mov_b32_e32 v187, v184                                   // 00000000B120: 7F7603B8
	v_mov_b32_e32 v184, v183                                   // 00000000B124: 7F7003B7
	v_mov_b32_e32 v185, v183                                   // 00000000B128: 7F7203B7
	v_mov_b32_e32 v183, v182                                   // 00000000B12C: 7F6E03B6
	v_pk_mul_f32 v[4:5], v[182:183], v[52:53]                  // 00000000B130: D3B14004 180269B6
	v_pk_mul_f32 v[6:7], v[182:183], v[54:55]                  // 00000000B138: D3B14006 18026DB6
	v_pk_mul_f32 v[8:9], v[182:183], v[56:57]                  // 00000000B140: D3B14008 180271B6
	v_pk_mul_f32 v[10:11], v[182:183], v[58:59]                // 00000000B148: D3B1400A 180275B6
	v_pk_mul_f32 v[12:13], v[182:183], v[60:61]                // 00000000B150: D3B1400C 180279B6
	v_pk_mul_f32 v[14:15], v[182:183], v[62:63]                // 00000000B158: D3B1400E 18027DB6
	v_pk_mul_f32 v[16:17], v[182:183], v[64:65]                // 00000000B160: D3B14010 180281B6
	v_pk_mul_f32 v[18:19], v[182:183], v[66:67]                // 00000000B168: D3B14012 180285B6
	v_pk_mul_f32 v[20:21], v[184:185], v[68:69]                // 00000000B170: D3B14014 180289B8
	v_pk_mul_f32 v[22:23], v[184:185], v[70:71]                // 00000000B178: D3B14016 18028DB8
	v_pk_mul_f32 v[24:25], v[184:185], v[72:73]                // 00000000B180: D3B14018 180291B8
	v_pk_mul_f32 v[26:27], v[184:185], v[74:75]                // 00000000B188: D3B1401A 180295B8
	v_pk_mul_f32 v[28:29], v[184:185], v[76:77]                // 00000000B190: D3B1401C 180299B8
	v_pk_mul_f32 v[30:31], v[184:185], v[78:79]                // 00000000B198: D3B1401E 18029DB8
	v_pk_mul_f32 v[32:33], v[184:185], v[80:81]                // 00000000B1A0: D3B14020 1802A1B8
	v_pk_mul_f32 v[34:35], v[184:185], v[82:83]                // 00000000B1A8: D3B14022 1802A5B8
	v_pk_mul_f32 v[36:37], v[186:187], v[84:85]                // 00000000B1B0: D3B14024 1802A9BA
	v_pk_mul_f32 v[38:39], v[186:187], v[86:87]                // 00000000B1B8: D3B14026 1802ADBA
	v_pk_mul_f32 v[40:41], v[186:187], v[88:89]                // 00000000B1C0: D3B14028 1802B1BA
	v_pk_mul_f32 v[42:43], v[186:187], v[90:91]                // 00000000B1C8: D3B1402A 1802B5BA
	v_pk_mul_f32 v[44:45], v[186:187], v[92:93]                // 00000000B1D0: D3B1402C 1802B9BA
	v_pk_mul_f32 v[46:47], v[186:187], v[94:95]                // 00000000B1D8: D3B1402E 1802BDBA
	v_pk_mul_f32 v[48:49], v[186:187], v[96:97]                // 00000000B1E0: D3B14030 1802C1BA
	v_pk_mul_f32 v[50:51], v[186:187], v[98:99]                // 00000000B1E8: D3B14032 1802C5BA
	v_cvt_pk_fp8_f32 v4, v4, v5                                // 00000000B1F0: D2A20004 00020B04
	v_cvt_pk_fp8_f32 v4, v6, v7 op_sel:[0,0,1]                 // 00000000B1F8: D2A24004 00020F06
	v_cvt_pk_fp8_f32 v5, v8, v9                                // 00000000B200: D2A20005 00021308
	v_cvt_pk_fp8_f32 v5, v10, v11 op_sel:[0,0,1]               // 00000000B208: D2A24005 0002170A
	v_cvt_pk_fp8_f32 v6, v12, v13                              // 00000000B210: D2A20006 00021B0C
	v_cvt_pk_fp8_f32 v6, v14, v15 op_sel:[0,0,1]               // 00000000B218: D2A24006 00021F0E
	v_cvt_pk_fp8_f32 v7, v16, v17                              // 00000000B220: D2A20007 00022310
	v_cvt_pk_fp8_f32 v7, v18, v19 op_sel:[0,0,1]               // 00000000B228: D2A24007 00022712
	v_cvt_pk_fp8_f32 v8, v20, v21                              // 00000000B230: D2A20008 00022B14
	v_cvt_pk_fp8_f32 v8, v22, v23 op_sel:[0,0,1]               // 00000000B238: D2A24008 00022F16
	v_cvt_pk_fp8_f32 v9, v24, v25                              // 00000000B240: D2A20009 00023318
	v_cvt_pk_fp8_f32 v9, v26, v27 op_sel:[0,0,1]               // 00000000B248: D2A24009 0002371A
	v_cvt_pk_fp8_f32 v10, v28, v29                             // 00000000B250: D2A2000A 00023B1C
	v_cvt_pk_fp8_f32 v10, v30, v31 op_sel:[0,0,1]              // 00000000B258: D2A2400A 00023F1E
	v_cvt_pk_fp8_f32 v11, v32, v33                             // 00000000B260: D2A2000B 00024320
	v_cvt_pk_fp8_f32 v11, v34, v35 op_sel:[0,0,1]              // 00000000B268: D2A2400B 00024722
	v_cvt_pk_fp8_f32 v12, v36, v37                             // 00000000B270: D2A2000C 00024B24
	v_cvt_pk_fp8_f32 v12, v38, v39 op_sel:[0,0,1]              // 00000000B278: D2A2400C 00024F26
	v_cvt_pk_fp8_f32 v13, v40, v41                             // 00000000B280: D2A2000D 00025328
	v_cvt_pk_fp8_f32 v13, v42, v43 op_sel:[0,0,1]              // 00000000B288: D2A2400D 0002572A
	v_cvt_pk_fp8_f32 v14, v44, v45                             // 00000000B290: D2A2000E 00025B2C
	v_cvt_pk_fp8_f32 v14, v46, v47 op_sel:[0,0,1]              // 00000000B298: D2A2400E 00025F2E
	v_cvt_pk_fp8_f32 v15, v48, v49                             // 00000000B2A0: D2A2000F 00026330
	v_cvt_pk_fp8_f32 v15, v50, v51 op_sel:[0,0,1]              // 00000000B2A8: D2A2400F 00026732
	ds_write_b32 v251, v4 offset:8192                          // 00000000B2B0: D81A2000 000004FB
	ds_write_b32 v251, v5 offset:9216                          // 00000000B2B8: D81A2400 000005FB
	ds_write_b32 v251, v6 offset:10240                         // 00000000B2C0: D81A2800 000006FB
	ds_write_b32 v251, v7 offset:11264                         // 00000000B2C8: D81A2C00 000007FB
	ds_write_b32 v251, v8 offset:12288                         // 00000000B2D0: D81A3000 000008FB
	ds_write_b32 v251, v9 offset:13312                         // 00000000B2D8: D81A3400 000009FB
	ds_write_b32 v251, v10 offset:14336                        // 00000000B2E0: D81A3800 00000AFB
	ds_write_b32 v251, v11 offset:15360                        // 00000000B2E8: D81A3C00 00000BFB
	ds_write_b32 v251, v12 offset:16384                        // 00000000B2F0: D81A4000 00000CFB
	ds_write_b32 v251, v13 offset:17408                        // 00000000B2F8: D81A4400 00000DFB
	ds_write_b32 v251, v14 offset:18432                        // 00000000B300: D81A4800 00000EFB
	ds_write_b32 v251, v15 offset:19456                        // 00000000B308: D81A4C00 00000FFB
	v_rcp_f32_e32 v158, v182                                   // 00000000B310: 7F3C45B6
	v_rcp_f32_e32 v160, v184                                   // 00000000B314: 7F4045B8
	v_rcp_f32_e32 v162, v186                                   // 00000000B318: 7F4445BA
	v_mov_b32_e32 v159, v158                                   // 00000000B31C: 7F3E039E
	v_mov_b32_e32 v161, v160                                   // 00000000B320: 7F4203A0
	v_mov_b32_e32 v163, v162                                   // 00000000B324: 7F4603A2
	v_pk_add_f32 v[124:125], v[124:125], v[100:101]            // 00000000B328: D3B2407C 1802C97C
	v_pk_add_f32 v[126:127], v[126:127], v[102:103]            // 00000000B330: D3B2407E 1802CD7E
	v_pk_add_f32 v[128:129], v[128:129], v[104:105]            // 00000000B338: D3B24080 1802D180
	v_pk_add_f32 v[130:131], v[130:131], v[106:107]            // 00000000B340: D3B24082 1802D582
	v_pk_add_f32 v[132:133], v[132:133], v[108:109]            // 00000000B348: D3B24084 1802D984
	v_pk_add_f32 v[134:135], v[134:135], v[110:111]            // 00000000B350: D3B24086 1802DD86
	v_pk_add_f32 v[136:137], v[136:137], v[112:113]            // 00000000B358: D3B24088 1802E188
	v_pk_add_f32 v[138:139], v[138:139], v[114:115]            // 00000000B360: D3B2408A 1802E58A
	v_pk_add_f32 v[140:141], v[140:141], v[116:117]            // 00000000B368: D3B2408C 1802E98C
	v_pk_add_f32 v[142:143], v[142:143], v[118:119]            // 00000000B370: D3B2408E 1802ED8E
	v_pk_add_f32 v[144:145], v[144:145], v[120:121]            // 00000000B378: D3B24090 1802F190
	v_pk_add_f32 v[146:147], v[146:147], v[122:123]            // 00000000B380: D3B24092 1802F592
	s_waitcnt lgkmcnt(0)                                       // 00000000B388: BF8CC07F
	s_barrier                                                  // 00000000B38C: BF8A0000
	ds_read_b128 v[4:7], v252 offset:8192                      // 00000000B390: D9FE2000 040000FC
	ds_read_b128 v[8:11], v252 offset:9216                     // 00000000B398: D9FE2400 080000FC
	ds_read_b128 v[12:15], v252 offset:10240                   // 00000000B3A0: D9FE2800 0C0000FC
	ds_read_b128 v[16:19], v252 offset:11264                   // 00000000B3A8: D9FE2C00 100000FC
	ds_read_b128 v[20:23], v252 offset:12288                   // 00000000B3B0: D9FE3000 140000FC
	ds_read_b128 v[24:27], v252 offset:13312                   // 00000000B3B8: D9FE3400 180000FC
	ds_read_b128 v[28:31], v252 offset:14336                   // 00000000B3C0: D9FE3800 1C0000FC
	ds_read_b128 v[32:35], v252 offset:15360                   // 00000000B3C8: D9FE3C00 200000FC
	ds_read_b128 v[36:39], v252 offset:16384                   // 00000000B3D0: D9FE4000 240000FC
	ds_read_b128 v[40:43], v252 offset:17408                   // 00000000B3D8: D9FE4400 280000FC
	ds_read_b128 v[44:47], v252 offset:18432                   // 00000000B3E0: D9FE4800 2C0000FC
	ds_read_b128 v[48:51], v252 offset:19456                   // 00000000B3E8: D9FE4C00 300000FC
	s_waitcnt vmcnt(10)                                        // 00000000B3F0: BF8C0F7A
	s_waitcnt lgkmcnt(11)                                      // 00000000B3F4: BF8CCB7F
	v_mfma_f32_16x16x32_fp8_fp8 v[100:103], a[88:89], v[4:5], 0// 00000000B3F8: D3F30064 0A020958
	v_mfma_f32_16x16x32_fp8_fp8 v[104:107], a[104:105], v[4:5], 0// 00000000B400: D3F30068 0A020968
	v_mfma_f32_16x16x32_fp8_fp8 v[100:103], a[90:91], v[6:7], v[100:103]// 00000000B408: D3F30064 0D920D5A
	buffer_load_dwordx4 a[120:123], v231, s[16:19], 0 offen    // 00000000B410: E05C1000 808478E7
	v_mfma_f32_16x16x32_fp8_fp8 v[104:107], a[106:107], v[6:7], v[104:107]// 00000000B418: D3F30068 0DA20D6A
	s_waitcnt lgkmcnt(10)                                      // 00000000B420: BF8CCA7F
	v_mfma_f32_16x16x32_fp8_fp8 v[100:103], a[92:93], v[8:9], v[100:103]// 00000000B424: D3F30064 0D92115C
	v_mfma_f32_16x16x32_fp8_fp8 v[104:107], a[108:109], v[8:9], v[104:107]// 00000000B42C: D3F30068 0DA2116C
	v_mfma_f32_16x16x32_fp8_fp8 v[100:103], a[94:95], v[10:11], v[100:103]// 00000000B434: D3F30064 0D92155E
	buffer_load_dwordx4 a[124:127], v232, s[16:19], 0 offen    // 00000000B43C: E05C1000 80847CE8
	v_mfma_f32_16x16x32_fp8_fp8 v[104:107], a[110:111], v[10:11], v[104:107]// 00000000B444: D3F30068 0DA2156E
	s_waitcnt lgkmcnt(9)                                       // 00000000B44C: BF8CC97F
	v_mfma_f32_16x16x32_fp8_fp8 v[100:103], a[96:97], v[12:13], v[100:103]// 00000000B450: D3F30064 0D921960
	v_mfma_f32_16x16x32_fp8_fp8 v[104:107], a[112:113], v[12:13], v[104:107]// 00000000B458: D3F30068 0DA21970
	v_mfma_f32_16x16x32_fp8_fp8 v[100:103], a[98:99], v[14:15], v[100:103]// 00000000B460: D3F30064 0D921D62
	buffer_load_dwordx4 a[128:131], v233, s[16:19], 0 offen    // 00000000B468: E05C1000 808480E9
	v_mfma_f32_16x16x32_fp8_fp8 v[104:107], a[114:115], v[14:15], v[104:107]// 00000000B470: D3F30068 0DA21D72
	s_waitcnt lgkmcnt(8)                                       // 00000000B478: BF8CC87F
	v_mfma_f32_16x16x32_fp8_fp8 v[100:103], a[100:101], v[16:17], v[100:103]// 00000000B47C: D3F30064 0D922164
	v_mfma_f32_16x16x32_fp8_fp8 v[104:107], a[116:117], v[16:17], v[104:107]// 00000000B484: D3F30068 0DA22174
	v_mfma_f32_16x16x32_fp8_fp8 v[100:103], a[102:103], v[18:19], v[100:103]// 00000000B48C: D3F30064 0D922566
	buffer_load_dwordx4 a[132:135], v234, s[16:19], 0 offen    // 00000000B494: E05C1000 808484EA
	v_mfma_f32_16x16x32_fp8_fp8 v[104:107], a[118:119], v[18:19], v[104:107]// 00000000B49C: D3F30068 0DA22576
	s_waitcnt lgkmcnt(7)                                       // 00000000B4A4: BF8CC77F
	v_mfma_f32_16x16x32_fp8_fp8 v[108:111], a[88:89], v[20:21], 0// 00000000B4A8: D3F3006C 0A022958
	v_mfma_f32_16x16x32_fp8_fp8 v[112:115], a[104:105], v[20:21], 0// 00000000B4B0: D3F30070 0A022968
	v_mfma_f32_16x16x32_fp8_fp8 v[108:111], a[90:91], v[22:23], v[108:111]// 00000000B4B8: D3F3006C 0DB22D5A
	buffer_load_dwordx4 a[136:139], v231, s[16:19], 0 offen offset:1024// 00000000B4C0: E05C1400 808488E7
	v_mfma_f32_16x16x32_fp8_fp8 v[112:115], a[106:107], v[22:23], v[112:115]// 00000000B4C8: D3F30070 0DC22D6A
	s_waitcnt lgkmcnt(6)                                       // 00000000B4D0: BF8CC67F
	v_mfma_f32_16x16x32_fp8_fp8 v[108:111], a[92:93], v[24:25], v[108:111]// 00000000B4D4: D3F3006C 0DB2315C
	v_mfma_f32_16x16x32_fp8_fp8 v[112:115], a[108:109], v[24:25], v[112:115]// 00000000B4DC: D3F30070 0DC2316C
	v_mfma_f32_16x16x32_fp8_fp8 v[108:111], a[94:95], v[26:27], v[108:111]// 00000000B4E4: D3F3006C 0DB2355E
	buffer_load_dwordx4 a[140:143], v232, s[16:19], 0 offen offset:1024// 00000000B4EC: E05C1400 80848CE8
	v_mfma_f32_16x16x32_fp8_fp8 v[112:115], a[110:111], v[26:27], v[112:115]// 00000000B4F4: D3F30070 0DC2356E
	s_waitcnt lgkmcnt(5)                                       // 00000000B4FC: BF8CC57F
	v_mfma_f32_16x16x32_fp8_fp8 v[108:111], a[96:97], v[28:29], v[108:111]// 00000000B500: D3F3006C 0DB23960
	v_mfma_f32_16x16x32_fp8_fp8 v[112:115], a[112:113], v[28:29], v[112:115]// 00000000B508: D3F30070 0DC23970
	v_mfma_f32_16x16x32_fp8_fp8 v[108:111], a[98:99], v[30:31], v[108:111]// 00000000B510: D3F3006C 0DB23D62
	buffer_load_dwordx4 a[144:147], v233, s[16:19], 0 offen offset:1024// 00000000B518: E05C1400 808490E9
	v_mfma_f32_16x16x32_fp8_fp8 v[112:115], a[114:115], v[30:31], v[112:115]// 00000000B520: D3F30070 0DC23D72
	s_waitcnt lgkmcnt(4)                                       // 00000000B528: BF8CC47F
	v_mfma_f32_16x16x32_fp8_fp8 v[108:111], a[100:101], v[32:33], v[108:111]// 00000000B52C: D3F3006C 0DB24164
	v_mfma_f32_16x16x32_fp8_fp8 v[112:115], a[116:117], v[32:33], v[112:115]// 00000000B534: D3F30070 0DC24174
	v_mfma_f32_16x16x32_fp8_fp8 v[108:111], a[102:103], v[34:35], v[108:111]// 00000000B53C: D3F3006C 0DB24566
	buffer_load_dwordx4 a[148:151], v234, s[16:19], 0 offen offset:1024// 00000000B544: E05C1400 808494EA
	v_mfma_f32_16x16x32_fp8_fp8 v[112:115], a[118:119], v[34:35], v[112:115]// 00000000B54C: D3F30070 0DC24576
	s_waitcnt lgkmcnt(3)                                       // 00000000B554: BF8CC37F
	v_mfma_f32_16x16x32_fp8_fp8 v[116:119], a[88:89], v[36:37], 0// 00000000B558: D3F30074 0A024958
	v_mfma_f32_16x16x32_fp8_fp8 v[120:123], a[104:105], v[36:37], 0// 00000000B560: D3F30078 0A024968
	v_mfma_f32_16x16x32_fp8_fp8 v[116:119], a[90:91], v[38:39], v[116:119]// 00000000B568: D3F30074 0DD24D5A
	v_mfma_f32_16x16x32_fp8_fp8 v[120:123], a[106:107], v[38:39], v[120:123]// 00000000B570: D3F30078 0DE24D6A
	s_waitcnt lgkmcnt(2)                                       // 00000000B578: BF8CC27F
	v_mfma_f32_16x16x32_fp8_fp8 v[116:119], a[92:93], v[40:41], v[116:119]// 00000000B57C: D3F30074 0DD2515C
	v_mfma_f32_16x16x32_fp8_fp8 v[120:123], a[108:109], v[40:41], v[120:123]// 00000000B584: D3F30078 0DE2516C
	v_mfma_f32_16x16x32_fp8_fp8 v[116:119], a[94:95], v[42:43], v[116:119]// 00000000B58C: D3F30074 0DD2555E
	v_mfma_f32_16x16x32_fp8_fp8 v[120:123], a[110:111], v[42:43], v[120:123]// 00000000B594: D3F30078 0DE2556E
	s_waitcnt lgkmcnt(1)                                       // 00000000B59C: BF8CC17F
	v_mfma_f32_16x16x32_fp8_fp8 v[116:119], a[96:97], v[44:45], v[116:119]// 00000000B5A0: D3F30074 0DD25960
	v_mfma_f32_16x16x32_fp8_fp8 v[120:123], a[112:113], v[44:45], v[120:123]// 00000000B5A8: D3F30078 0DE25970
	v_mfma_f32_16x16x32_fp8_fp8 v[116:119], a[98:99], v[46:47], v[116:119]// 00000000B5B0: D3F30074 0DD25D62
	v_mfma_f32_16x16x32_fp8_fp8 v[120:123], a[114:115], v[46:47], v[120:123]// 00000000B5B8: D3F30078 0DE25D72
	s_waitcnt lgkmcnt(0)                                       // 00000000B5C0: BF8CC07F
	v_mfma_f32_16x16x32_fp8_fp8 v[116:119], a[100:101], v[48:49], v[116:119]// 00000000B5C4: D3F30074 0DD26164
	v_mfma_f32_16x16x32_fp8_fp8 v[120:123], a[116:117], v[48:49], v[120:123]// 00000000B5CC: D3F30078 0DE26174
	v_mfma_f32_16x16x32_fp8_fp8 v[116:119], a[102:103], v[50:51], v[116:119]// 00000000B5D4: D3F30074 0DD26566
	v_mfma_f32_16x16x32_fp8_fp8 v[120:123], a[118:119], v[50:51], v[120:123]// 00000000B5DC: D3F30078 0DE26576
	s_addk_i32 s64, 0x100                                      // 00000000B5E4: B7400100
	s_cmp_lt_i32 s64, s63                                      // 00000000B5E8: BF043F40
	s_cbranch_scc0 label_3EC3                                  // 00000000B5EC: BF841B47
	s_waitcnt vmcnt(10)                                        // 00000000B5F0: BF8C0F7A
	v_mfma_f32_16x16x32_fp8_fp8 v[4:7], a[56:57], a[0:1], 0    // 00000000B5F4: D3F30004 1A020138
	s_add_u32 s12, s86, s69                                    // 00000000B5FC: 800C4556
	s_addc_u32 s13, s87, 0                                     // 00000000B600: 820D8057
	v_mfma_f32_16x16x32_fp8_fp8 v[4:7], a[58:59], a[2:3], v[4:7]// 00000000B604: D3F30004 1C12053A
	s_add_u32 s16, s88, s70                                    // 00000000B60C: 80104658
	s_addc_u32 s17, s89, 0                                     // 00000000B610: 82118059
	v_mfma_f32_16x16x32_fp8_fp8 v[4:7], a[60:61], a[4:5], v[4:7]// 00000000B614: D3F30004 1C12093C
	buffer_load_dwordx4 a[24:27], v229, s[12:15], 0 offen      // 00000000B61C: E05C1000 808318E5
	v_mfma_f32_16x16x32_fp8_fp8 v[4:7], a[62:63], a[6:7], v[4:7]// 00000000B624: D3F30004 1C120D3E
	s_add_u32 s20, s90, s71                                    // 00000000B62C: 8014475A
	s_addc_u32 s21, s91, 0                                     // 00000000B630: 8215805B
	v_mfma_f32_16x16x32_fp8_fp8 v[8:11], a[64:65], a[0:1], 0   // 00000000B634: D3F30008 1A020140
	s_add_u32 s24, s92, s71                                    // 00000000B63C: 8018475C
	s_addc_u32 s25, s93, 0                                     // 00000000B640: 8219805D
	v_mfma_f32_16x16x32_fp8_fp8 v[8:11], a[66:67], a[2:3], v[8:11]// 00000000B644: D3F30008 1C220542
	s_add_u32 s69, s69, 0x1000                                 // 00000000B64C: 8045FF45 00001000
	s_add_u32 s70, s70, 0x8000                                 // 00000000B654: 8046FF46 00008000
	v_mfma_f32_16x16x32_fp8_fp8 v[8:11], a[68:69], a[4:5], v[8:11]// 00000000B65C: D3F30008 1C220944
	buffer_load_dwordx4 a[28:31], v230, s[12:15], 0 offen      // 00000000B664: E05C1000 80831CE6
	v_mfma_f32_16x16x32_fp8_fp8 v[8:11], a[70:71], a[6:7], v[8:11]// 00000000B66C: D3F30008 1C220D46
	s_add_u32 s71, s71, 0x400                                  // 00000000B674: 8047FF47 00000400
	v_mfma_f32_16x16x32_fp8_fp8 v[12:15], a[72:73], a[0:1], 0  // 00000000B67C: D3F3000C 1A020148
	v_mfma_f32_16x16x32_fp8_fp8 v[12:15], a[74:75], a[2:3], v[12:15]// 00000000B684: D3F3000C 1C32054A
	v_mfma_f32_16x16x32_fp8_fp8 v[12:15], a[76:77], a[4:5], v[12:15]// 00000000B68C: D3F3000C 1C32094C
	buffer_load_dwordx4 a[32:35], v229, s[12:15], 0 offen offset:1024// 00000000B694: E05C1400 808320E5
	v_mfma_f32_16x16x32_fp8_fp8 v[12:15], a[78:79], a[6:7], v[12:15]// 00000000B69C: D3F3000C 1C320D4E
	v_mfma_f32_16x16x32_fp8_fp8 v[16:19], a[80:81], a[0:1], 0  // 00000000B6A4: D3F30010 1A020150
	v_mfma_f32_16x16x32_fp8_fp8 v[16:19], a[82:83], a[2:3], v[16:19]// 00000000B6AC: D3F30010 1C420552
	v_mfma_f32_16x16x32_fp8_fp8 v[16:19], a[84:85], a[4:5], v[16:19]// 00000000B6B4: D3F30010 1C420954
	buffer_load_dwordx4 a[36:39], v230, s[12:15], 0 offen offset:1024// 00000000B6BC: E05C1400 808324E6
	v_mfma_f32_16x16x32_fp8_fp8 v[16:19], a[86:87], a[6:7], v[16:19]// 00000000B6C4: D3F30010 1C420D56
	v_mfma_f32_16x16x32_fp8_fp8 v[20:23], a[56:57], a[8:9], 0  // 00000000B6CC: D3F30014 1A021138
	v_mfma_f32_16x16x32_fp8_fp8 v[20:23], a[58:59], a[10:11], v[20:23]// 00000000B6D4: D3F30014 1C52153A
	v_mfma_f32_16x16x32_fp8_fp8 v[20:23], a[60:61], a[12:13], v[20:23]// 00000000B6DC: D3F30014 1C52193C
	buffer_load_dwordx4 a[40:43], v229, s[12:15], 0 offen offset:2048// 00000000B6E4: E05C1800 808328E5
	v_mfma_f32_16x16x32_fp8_fp8 v[20:23], a[62:63], a[14:15], v[20:23]// 00000000B6EC: D3F30014 1C521D3E
	v_mfma_f32_16x16x32_fp8_fp8 v[24:27], a[64:65], a[8:9], 0  // 00000000B6F4: D3F30018 1A021140
	v_mfma_f32_16x16x32_fp8_fp8 v[24:27], a[66:67], a[10:11], v[24:27]// 00000000B6FC: D3F30018 1C621542
	v_mfma_f32_16x16x32_fp8_fp8 v[24:27], a[68:69], a[12:13], v[24:27]// 00000000B704: D3F30018 1C621944
	buffer_load_dwordx4 a[44:47], v230, s[12:15], 0 offen offset:2048// 00000000B70C: E05C1800 80832CE6
	v_mfma_f32_16x16x32_fp8_fp8 v[24:27], a[70:71], a[14:15], v[24:27]// 00000000B714: D3F30018 1C621D46
	v_mfma_f32_16x16x32_fp8_fp8 v[28:31], a[72:73], a[8:9], 0  // 00000000B71C: D3F3001C 1A021148
	v_mfma_f32_16x16x32_fp8_fp8 v[28:31], a[74:75], a[10:11], v[28:31]// 00000000B724: D3F3001C 1C72154A
	v_mfma_f32_16x16x32_fp8_fp8 v[28:31], a[76:77], a[12:13], v[28:31]// 00000000B72C: D3F3001C 1C72194C
	buffer_load_dwordx4 a[48:51], v229, s[12:15], 0 offen offset:3072// 00000000B734: E05C1C00 808330E5
	v_mfma_f32_16x16x32_fp8_fp8 v[28:31], a[78:79], a[14:15], v[28:31]// 00000000B73C: D3F3001C 1C721D4E
	v_mfma_f32_16x16x32_fp8_fp8 v[32:35], a[80:81], a[8:9], 0  // 00000000B744: D3F30020 1A021150
	v_mfma_f32_16x16x32_fp8_fp8 v[32:35], a[82:83], a[10:11], v[32:35]// 00000000B74C: D3F30020 1C821552
	v_mfma_f32_16x16x32_fp8_fp8 v[32:35], a[84:85], a[12:13], v[32:35]// 00000000B754: D3F30020 1C821954
	buffer_load_dwordx4 a[52:55], v230, s[12:15], 0 offen offset:3072// 00000000B75C: E05C1C00 808334E6
	v_mfma_f32_16x16x32_fp8_fp8 v[32:35], a[86:87], a[14:15], v[32:35]// 00000000B764: D3F30020 1C821D56
	v_mfma_f32_16x16x32_fp8_fp8 v[36:39], a[56:57], a[16:17], 0// 00000000B76C: D3F30024 1A022138
	v_mfma_f32_16x16x32_fp8_fp8 v[36:39], a[58:59], a[18:19], v[36:39]// 00000000B774: D3F30024 1C92253A
	v_mfma_f32_16x16x32_fp8_fp8 v[36:39], a[60:61], a[20:21], v[36:39]// 00000000B77C: D3F30024 1C92293C
	v_mfma_f32_16x16x32_fp8_fp8 v[36:39], a[62:63], a[22:23], v[36:39]// 00000000B784: D3F30024 1C922D3E
	v_mfma_f32_16x16x32_fp8_fp8 v[40:43], a[64:65], a[16:17], 0// 00000000B78C: D3F30028 1A022140
	v_mfma_f32_16x16x32_fp8_fp8 v[40:43], a[66:67], a[18:19], v[40:43]// 00000000B794: D3F30028 1CA22542
	v_mfma_f32_16x16x32_fp8_fp8 v[40:43], a[68:69], a[20:21], v[40:43]// 00000000B79C: D3F30028 1CA22944
	v_mfma_f32_16x16x32_fp8_fp8 v[40:43], a[70:71], a[22:23], v[40:43]// 00000000B7A4: D3F30028 1CA22D46
	v_mfma_f32_16x16x32_fp8_fp8 v[44:47], a[72:73], a[16:17], 0// 00000000B7AC: D3F3002C 1A022148
	v_mfma_f32_16x16x32_fp8_fp8 v[44:47], a[74:75], a[18:19], v[44:47]// 00000000B7B4: D3F3002C 1CB2254A
	v_mfma_f32_16x16x32_fp8_fp8 v[44:47], a[76:77], a[20:21], v[44:47]// 00000000B7BC: D3F3002C 1CB2294C
	v_mfma_f32_16x16x32_fp8_fp8 v[44:47], a[78:79], a[22:23], v[44:47]// 00000000B7C4: D3F3002C 1CB22D4E
	v_mfma_f32_16x16x32_fp8_fp8 v[48:51], a[80:81], a[16:17], 0// 00000000B7CC: D3F30030 1A022150
	v_mfma_f32_16x16x32_fp8_fp8 v[48:51], a[82:83], a[18:19], v[48:51]// 00000000B7D4: D3F30030 1CC22552
	v_mfma_f32_16x16x32_fp8_fp8 v[48:51], a[84:85], a[20:21], v[48:51]// 00000000B7DC: D3F30030 1CC22954
	v_mfma_f32_16x16x32_fp8_fp8 v[48:51], a[86:87], a[22:23], v[48:51]// 00000000B7E4: D3F30030 1CC22D56
	s_waitcnt vmcnt(16)                                        // 00000000B7EC: BF8C4F70
	v_pk_mul_f32 v[4:5], v[148:149], v[4:5]                    // 00000000B7F0: D3B14004 18020994
	v_pk_mul_f32 v[6:7], v[148:149], v[6:7]                    // 00000000B7F8: D3B14006 18020D94
	v_mul_f32_dpp v4, v155, v4 row_newbcast:0 row_mask:0xf bank_mask:0xf// 00000000B800: 0A0808FA FF01509B
	v_mul_f32_dpp v5, v155, v5 row_newbcast:1 row_mask:0xf bank_mask:0xf// 00000000B808: 0A0A0AFA FF01519B
	v_mul_f32_dpp v6, v155, v6 row_newbcast:2 row_mask:0xf bank_mask:0xf// 00000000B810: 0A0C0CFA FF01529B
	v_mul_f32_dpp v7, v155, v7 row_newbcast:3 row_mask:0xf bank_mask:0xf// 00000000B818: 0A0E0EFA FF01539B
	v_pk_mul_f32 v[8:9], v[148:149], v[8:9]                    // 00000000B820: D3B14008 18021194
	v_pk_mul_f32 v[10:11], v[148:149], v[10:11]                // 00000000B828: D3B1400A 18021594
	v_mul_f32_dpp v8, v155, v8 row_newbcast:4 row_mask:0xf bank_mask:0xf// 00000000B830: 0A1010FA FF01549B
	v_mul_f32_dpp v9, v155, v9 row_newbcast:5 row_mask:0xf bank_mask:0xf// 00000000B838: 0A1212FA FF01559B
	v_mul_f32_dpp v10, v155, v10 row_newbcast:6 row_mask:0xf bank_mask:0xf// 00000000B840: 0A1414FA FF01569B
	v_mul_f32_dpp v11, v155, v11 row_newbcast:7 row_mask:0xf bank_mask:0xf// 00000000B848: 0A1616FA FF01579B
	v_pk_mul_f32 v[12:13], v[148:149], v[12:13]                // 00000000B850: D3B1400C 18021994
	v_pk_mul_f32 v[14:15], v[148:149], v[14:15]                // 00000000B858: D3B1400E 18021D94
	v_mul_f32_dpp v12, v155, v12 row_newbcast:8 row_mask:0xf bank_mask:0xf// 00000000B860: 0A1818FA FF01589B
	v_mul_f32_dpp v13, v155, v13 row_newbcast:9 row_mask:0xf bank_mask:0xf// 00000000B868: 0A1A1AFA FF01599B
	v_mul_f32_dpp v14, v155, v14 row_newbcast:10 row_mask:0xf bank_mask:0xf// 00000000B870: 0A1C1CFA FF015A9B
	v_mul_f32_dpp v15, v155, v15 row_newbcast:11 row_mask:0xf bank_mask:0xf// 00000000B878: 0A1E1EFA FF015B9B
	v_pk_mul_f32 v[16:17], v[148:149], v[16:17]                // 00000000B880: D3B14010 18022194
	v_pk_mul_f32 v[18:19], v[148:149], v[18:19]                // 00000000B888: D3B14012 18022594
	v_mul_f32_dpp v16, v155, v16 row_newbcast:12 row_mask:0xf bank_mask:0xf// 00000000B890: 0A2020FA FF015C9B
	v_mul_f32_dpp v17, v155, v17 row_newbcast:13 row_mask:0xf bank_mask:0xf// 00000000B898: 0A2222FA FF015D9B
	v_mul_f32_dpp v18, v155, v18 row_newbcast:14 row_mask:0xf bank_mask:0xf// 00000000B8A0: 0A2424FA FF015E9B
	v_mul_f32_dpp v19, v155, v19 row_newbcast:15 row_mask:0xf bank_mask:0xf// 00000000B8A8: 0A2626FA FF015F9B
	v_pk_mul_f32 v[20:21], v[150:151], v[20:21]                // 00000000B8B0: D3B14014 18022996
	v_pk_mul_f32 v[22:23], v[150:151], v[22:23]                // 00000000B8B8: D3B14016 18022D96
	v_mul_f32_dpp v20, v155, v20 row_newbcast:0 row_mask:0xf bank_mask:0xf// 00000000B8C0: 0A2828FA FF01509B
	v_mul_f32_dpp v21, v155, v21 row_newbcast:1 row_mask:0xf bank_mask:0xf// 00000000B8C8: 0A2A2AFA FF01519B
	v_mul_f32_dpp v22, v155, v22 row_newbcast:2 row_mask:0xf bank_mask:0xf// 00000000B8D0: 0A2C2CFA FF01529B
	v_mul_f32_dpp v23, v155, v23 row_newbcast:3 row_mask:0xf bank_mask:0xf// 00000000B8D8: 0A2E2EFA FF01539B
	v_pk_mul_f32 v[24:25], v[150:151], v[24:25]                // 00000000B8E0: D3B14018 18023196
	v_pk_mul_f32 v[26:27], v[150:151], v[26:27]                // 00000000B8E8: D3B1401A 18023596
	v_mul_f32_dpp v24, v155, v24 row_newbcast:4 row_mask:0xf bank_mask:0xf// 00000000B8F0: 0A3030FA FF01549B
	v_mul_f32_dpp v25, v155, v25 row_newbcast:5 row_mask:0xf bank_mask:0xf// 00000000B8F8: 0A3232FA FF01559B
	v_mul_f32_dpp v26, v155, v26 row_newbcast:6 row_mask:0xf bank_mask:0xf// 00000000B900: 0A3434FA FF01569B
	v_mul_f32_dpp v27, v155, v27 row_newbcast:7 row_mask:0xf bank_mask:0xf// 00000000B908: 0A3636FA FF01579B
	v_pk_mul_f32 v[28:29], v[150:151], v[28:29]                // 00000000B910: D3B1401C 18023996
	v_pk_mul_f32 v[30:31], v[150:151], v[30:31]                // 00000000B918: D3B1401E 18023D96
	v_mul_f32_dpp v28, v155, v28 row_newbcast:8 row_mask:0xf bank_mask:0xf// 00000000B920: 0A3838FA FF01589B
	v_mul_f32_dpp v29, v155, v29 row_newbcast:9 row_mask:0xf bank_mask:0xf// 00000000B928: 0A3A3AFA FF01599B
	v_mul_f32_dpp v30, v155, v30 row_newbcast:10 row_mask:0xf bank_mask:0xf// 00000000B930: 0A3C3CFA FF015A9B
	v_mul_f32_dpp v31, v155, v31 row_newbcast:11 row_mask:0xf bank_mask:0xf// 00000000B938: 0A3E3EFA FF015B9B
	v_pk_mul_f32 v[32:33], v[150:151], v[32:33]                // 00000000B940: D3B14020 18024196
	v_pk_mul_f32 v[34:35], v[150:151], v[34:35]                // 00000000B948: D3B14022 18024596
	v_mul_f32_dpp v32, v155, v32 row_newbcast:12 row_mask:0xf bank_mask:0xf// 00000000B950: 0A4040FA FF015C9B
	v_mul_f32_dpp v33, v155, v33 row_newbcast:13 row_mask:0xf bank_mask:0xf// 00000000B958: 0A4242FA FF015D9B
	v_mul_f32_dpp v34, v155, v34 row_newbcast:14 row_mask:0xf bank_mask:0xf// 00000000B960: 0A4444FA FF015E9B
	v_mul_f32_dpp v35, v155, v35 row_newbcast:15 row_mask:0xf bank_mask:0xf// 00000000B968: 0A4646FA FF015F9B
	v_pk_mul_f32 v[36:37], v[152:153], v[36:37]                // 00000000B970: D3B14024 18024998
	v_pk_mul_f32 v[38:39], v[152:153], v[38:39]                // 00000000B978: D3B14026 18024D98
	v_mul_f32_dpp v36, v155, v36 row_newbcast:0 row_mask:0xf bank_mask:0xf// 00000000B980: 0A4848FA FF01509B
	v_mul_f32_dpp v37, v155, v37 row_newbcast:1 row_mask:0xf bank_mask:0xf// 00000000B988: 0A4A4AFA FF01519B
	v_mul_f32_dpp v38, v155, v38 row_newbcast:2 row_mask:0xf bank_mask:0xf// 00000000B990: 0A4C4CFA FF01529B
	v_mul_f32_dpp v39, v155, v39 row_newbcast:3 row_mask:0xf bank_mask:0xf// 00000000B998: 0A4E4EFA FF01539B
	v_pk_mul_f32 v[40:41], v[152:153], v[40:41]                // 00000000B9A0: D3B14028 18025198
	v_pk_mul_f32 v[42:43], v[152:153], v[42:43]                // 00000000B9A8: D3B1402A 18025598
	v_mul_f32_dpp v40, v155, v40 row_newbcast:4 row_mask:0xf bank_mask:0xf// 00000000B9B0: 0A5050FA FF01549B
	v_mul_f32_dpp v41, v155, v41 row_newbcast:5 row_mask:0xf bank_mask:0xf// 00000000B9B8: 0A5252FA FF01559B
	v_mul_f32_dpp v42, v155, v42 row_newbcast:6 row_mask:0xf bank_mask:0xf// 00000000B9C0: 0A5454FA FF01569B
	v_mul_f32_dpp v43, v155, v43 row_newbcast:7 row_mask:0xf bank_mask:0xf// 00000000B9C8: 0A5656FA FF01579B
	v_pk_mul_f32 v[44:45], v[152:153], v[44:45]                // 00000000B9D0: D3B1402C 18025998
	v_pk_mul_f32 v[46:47], v[152:153], v[46:47]                // 00000000B9D8: D3B1402E 18025D98
	v_mul_f32_dpp v44, v155, v44 row_newbcast:8 row_mask:0xf bank_mask:0xf// 00000000B9E0: 0A5858FA FF01589B
	v_mul_f32_dpp v45, v155, v45 row_newbcast:9 row_mask:0xf bank_mask:0xf// 00000000B9E8: 0A5A5AFA FF01599B
	v_mul_f32_dpp v46, v155, v46 row_newbcast:10 row_mask:0xf bank_mask:0xf// 00000000B9F0: 0A5C5CFA FF015A9B
	v_mul_f32_dpp v47, v155, v47 row_newbcast:11 row_mask:0xf bank_mask:0xf// 00000000B9F8: 0A5E5EFA FF015B9B
	v_pk_mul_f32 v[48:49], v[152:153], v[48:49]                // 00000000BA00: D3B14030 18026198
	v_pk_mul_f32 v[50:51], v[152:153], v[50:51]                // 00000000BA08: D3B14032 18026598
	v_mul_f32_dpp v48, v155, v48 row_newbcast:12 row_mask:0xf bank_mask:0xf// 00000000BA10: 0A6060FA FF015C9B
	v_mul_f32_dpp v49, v155, v49 row_newbcast:13 row_mask:0xf bank_mask:0xf// 00000000BA18: 0A6262FA FF015D9B
	v_mul_f32_dpp v50, v155, v50 row_newbcast:14 row_mask:0xf bank_mask:0xf// 00000000BA20: 0A6464FA FF015E9B
	v_mul_f32_dpp v51, v155, v51 row_newbcast:15 row_mask:0xf bank_mask:0xf// 00000000BA28: 0A6666FA FF015F9B
	v_mov_b32_e32 v182, v4                                     // 00000000BA30: 7F6C0304
	v_max3_f32 v182, v4, v5, v182                              // 00000000BA34: D1D300B6 06DA0B04
	v_max3_f32 v182, v6, v7, v182                              // 00000000BA3C: D1D300B6 06DA0F06
	v_max3_f32 v182, v8, v9, v182                              // 00000000BA44: D1D300B6 06DA1308
	v_max3_f32 v182, v10, v11, v182                            // 00000000BA4C: D1D300B6 06DA170A
	v_max3_f32 v182, v12, v13, v182                            // 00000000BA54: D1D300B6 06DA1B0C
	v_max3_f32 v182, v14, v15, v182                            // 00000000BA5C: D1D300B6 06DA1F0E
	v_max3_f32 v182, v16, v17, v182                            // 00000000BA64: D1D300B6 06DA2310
	v_max3_f32 v182, v18, v19, v182                            // 00000000BA6C: D1D300B6 06DA2712
	v_mov_b32_e32 v183, v20                                    // 00000000BA74: 7F6E0314
	v_max3_f32 v183, v20, v21, v183                            // 00000000BA78: D1D300B7 06DE2B14
	v_max3_f32 v183, v22, v23, v183                            // 00000000BA80: D1D300B7 06DE2F16
	v_max3_f32 v183, v24, v25, v183                            // 00000000BA88: D1D300B7 06DE3318
	v_max3_f32 v183, v26, v27, v183                            // 00000000BA90: D1D300B7 06DE371A
	v_max3_f32 v183, v28, v29, v183                            // 00000000BA98: D1D300B7 06DE3B1C
	v_max3_f32 v183, v30, v31, v183                            // 00000000BAA0: D1D300B7 06DE3F1E
	v_max3_f32 v183, v32, v33, v183                            // 00000000BAA8: D1D300B7 06DE4320
	v_max3_f32 v183, v34, v35, v183                            // 00000000BAB0: D1D300B7 06DE4722
	v_mov_b32_e32 v184, v36                                    // 00000000BAB8: 7F700324
	v_max3_f32 v184, v36, v37, v184                            // 00000000BABC: D1D300B8 06E24B24
	v_max3_f32 v184, v38, v39, v184                            // 00000000BAC4: D1D300B8 06E24F26
	v_max3_f32 v184, v40, v41, v184                            // 00000000BACC: D1D300B8 06E25328
	v_max3_f32 v184, v42, v43, v184                            // 00000000BAD4: D1D300B8 06E2572A
	v_max3_f32 v184, v44, v45, v184                            // 00000000BADC: D1D300B8 06E25B2C
	v_max3_f32 v184, v46, v47, v184                            // 00000000BAE4: D1D300B8 06E25F2E
	v_max3_f32 v184, v48, v49, v184                            // 00000000BAEC: D1D300B8 06E26330
	v_max3_f32 v184, v50, v51, v184                            // 00000000BAF4: D1D300B8 06E26732
	v_pk_mul_f32 v[124:125], v[170:171], v[124:125]            // 00000000BAFC: D3B1407C 1802F9AA
	v_pk_mul_f32 v[126:127], v[170:171], v[126:127]            // 00000000BB04: D3B1407E 1802FDAA
	v_pk_mul_f32 v[128:129], v[170:171], v[128:129]            // 00000000BB0C: D3B14080 180301AA
	v_pk_mul_f32 v[130:131], v[170:171], v[130:131]            // 00000000BB14: D3B14082 180305AA
	v_pk_mul_f32 v[132:133], v[172:173], v[132:133]            // 00000000BB1C: D3B14084 180309AC
	v_pk_mul_f32 v[134:135], v[172:173], v[134:135]            // 00000000BB24: D3B14086 18030DAC
	v_pk_mul_f32 v[136:137], v[172:173], v[136:137]            // 00000000BB2C: D3B14088 180311AC
	v_pk_mul_f32 v[138:139], v[172:173], v[138:139]            // 00000000BB34: D3B1408A 180315AC
	v_pk_mul_f32 v[140:141], v[174:175], v[140:141]            // 00000000BB3C: D3B1408C 180319AE
	v_pk_mul_f32 v[142:143], v[174:175], v[142:143]            // 00000000BB44: D3B1408E 18031DAE
	v_pk_mul_f32 v[144:145], v[174:175], v[144:145]            // 00000000BB4C: D3B14090 180321AE
	v_pk_mul_f32 v[146:147], v[174:175], v[146:147]            // 00000000BB54: D3B14092 180325AE
	ds_bpermute_b32 v188, v208, v182                           // 00000000BB5C: D87E0000 BC00B6D0
	ds_bpermute_b32 v189, v209, v182                           // 00000000BB64: D87E0000 BD00B6D1
	ds_bpermute_b32 v190, v210, v182                           // 00000000BB6C: D87E0000 BE00B6D2
	ds_bpermute_b32 v191, v208, v183                           // 00000000BB74: D87E0000 BF00B7D0
	ds_bpermute_b32 v192, v209, v183                           // 00000000BB7C: D87E0000 C000B7D1
	ds_bpermute_b32 v193, v210, v183                           // 00000000BB84: D87E0000 C100B7D2
	ds_bpermute_b32 v194, v208, v184                           // 00000000BB8C: D87E0000 C200B8D0
	ds_bpermute_b32 v195, v209, v184                           // 00000000BB94: D87E0000 C300B8D1
	ds_bpermute_b32 v196, v210, v184                           // 00000000BB9C: D87E0000 C400B8D2
	s_waitcnt lgkmcnt(6)                                       // 00000000BBA4: BF8CC67F
	v_max3_f32 v182, v188, v189, v182                          // 00000000BBA8: D1D300B6 06DB7BBC
	v_max_f32_e32 v182, v190, v182                             // 00000000BBB0: 176D6DBE
	s_waitcnt lgkmcnt(3)                                       // 00000000BBB4: BF8CC37F
	v_max3_f32 v183, v191, v192, v183                          // 00000000BBB8: D1D300B7 06DF81BF
	v_max_f32_e32 v183, v193, v183                             // 00000000BBC0: 176F6FC1
	s_waitcnt lgkmcnt(0)                                       // 00000000BBC4: BF8CC07F
	v_max3_f32 v184, v194, v195, v184                          // 00000000BBC8: D1D300B8 06E387C2
	v_max_f32_e32 v184, v196, v184                             // 00000000BBD0: 177171C4
	ds_write_b128 v249, v[182:185]                             // 00000000BBD4: D9BE0000 0000B6F9
	s_waitcnt lgkmcnt(0)                                       // 00000000BBDC: BF8CC07F
	s_barrier                                                  // 00000000BBE0: BF8A0000
	v_pk_mul_f32 v[100:101], v[158:159], v[100:101]            // 00000000BBE4: D3B14064 1802C99E
	v_pk_mul_f32 v[102:103], v[158:159], v[102:103]            // 00000000BBEC: D3B14066 1802CD9E
	v_pk_mul_f32 v[104:105], v[158:159], v[104:105]            // 00000000BBF4: D3B14068 1802D19E
	v_pk_mul_f32 v[106:107], v[158:159], v[106:107]            // 00000000BBFC: D3B1406A 1802D59E
	v_pk_mul_f32 v[108:109], v[160:161], v[108:109]            // 00000000BC04: D3B1406C 1802D9A0
	v_pk_mul_f32 v[110:111], v[160:161], v[110:111]            // 00000000BC0C: D3B1406E 1802DDA0
	v_pk_mul_f32 v[112:113], v[160:161], v[112:113]            // 00000000BC14: D3B14070 1802E1A0
	v_pk_mul_f32 v[114:115], v[160:161], v[114:115]            // 00000000BC1C: D3B14072 1802E5A0
	v_pk_mul_f32 v[116:117], v[162:163], v[116:117]            // 00000000BC24: D3B14074 1802E9A2
	v_pk_mul_f32 v[118:119], v[162:163], v[118:119]            // 00000000BC2C: D3B14076 1802EDA2
	v_pk_mul_f32 v[120:121], v[162:163], v[120:121]            // 00000000BC34: D3B14078 1802F1A2
	v_pk_mul_f32 v[122:123], v[162:163], v[122:123]            // 00000000BC3C: D3B1407A 1802F5A2
	ds_read_b128 v[188:191], v250                              // 00000000BC44: D9FE0000 BC0000FA
	ds_read_b128 v[192:195], v250 offset:256                   // 00000000BC4C: D9FE0100 C00000FA
	ds_read_b128 v[196:199], v250 offset:512                   // 00000000BC54: D9FE0200 C40000FA
	ds_read_b128 v[200:203], v250 offset:768                   // 00000000BC5C: D9FE0300 C80000FA
	s_waitcnt lgkmcnt(0)                                       // 00000000BC64: BF8CC07F
	v_max3_f32 v182, v188, v192, v182                          // 00000000BC68: D1D300B6 06DB81BC
	v_max3_f32 v183, v189, v193, v183                          // 00000000BC70: D1D300B7 06DF83BD
	v_max3_f32 v184, v190, v194, v184                          // 00000000BC78: D1D300B8 06E385BE
	v_max3_f32 v182, v196, v200, v182                          // 00000000BC80: D1D300B6 06DB91C4
	v_max3_f32 v183, v197, v201, v183                          // 00000000BC88: D1D300B7 06DF93C5
	v_max3_f32 v184, v198, v202, v184                          // 00000000BC90: D1D300B8 06E395C6
	v_max_f32_e32 v167, v182, v164                             // 00000000BC98: 174F49B6
	v_mul_f32_e64 v204, -s46, v167                             // 00000000BC9C: D10500CC 20034E2E
	v_mov_b32_e32 v205, v204                                   // 00000000BCA4: 7F9A03CC
	v_pk_fma_f32 v[4:5], v[4:5], s[46:47], v[204:205]          // 00000000BCA8: D3B04004 1F305D04
	v_pk_fma_f32 v[6:7], v[6:7], s[46:47], v[204:205]          // 00000000BCB0: D3B04006 1F305D06
	v_exp_f32_e32 v4, v4                                       // 00000000BCB8: 7E084104
	v_exp_f32_e32 v5, v5                                       // 00000000BCBC: 7E0A4105
	v_exp_f32_e32 v6, v6                                       // 00000000BCC0: 7E0C4106
	v_exp_f32_e32 v7, v7                                       // 00000000BCC4: 7E0E4107
	v_pk_fma_f32 v[8:9], v[8:9], s[46:47], v[204:205]          // 00000000BCC8: D3B04008 1F305D08
	v_pk_fma_f32 v[10:11], v[10:11], s[46:47], v[204:205]      // 00000000BCD0: D3B0400A 1F305D0A
	v_exp_f32_e32 v8, v8                                       // 00000000BCD8: 7E104108
	v_exp_f32_e32 v9, v9                                       // 00000000BCDC: 7E124109
	v_exp_f32_e32 v10, v10                                     // 00000000BCE0: 7E14410A
	v_exp_f32_e32 v11, v11                                     // 00000000BCE4: 7E16410B
	v_pk_fma_f32 v[12:13], v[12:13], s[46:47], v[204:205]      // 00000000BCE8: D3B0400C 1F305D0C
	v_pk_fma_f32 v[14:15], v[14:15], s[46:47], v[204:205]      // 00000000BCF0: D3B0400E 1F305D0E
	v_exp_f32_e32 v12, v12                                     // 00000000BCF8: 7E18410C
	v_exp_f32_e32 v13, v13                                     // 00000000BCFC: 7E1A410D
	v_exp_f32_e32 v14, v14                                     // 00000000BD00: 7E1C410E
	v_exp_f32_e32 v15, v15                                     // 00000000BD04: 7E1E410F
	v_pk_fma_f32 v[16:17], v[16:17], s[46:47], v[204:205]      // 00000000BD08: D3B04010 1F305D10
	v_pk_fma_f32 v[18:19], v[18:19], s[46:47], v[204:205]      // 00000000BD10: D3B04012 1F305D12
	v_exp_f32_e32 v16, v16                                     // 00000000BD18: 7E204110
	v_exp_f32_e32 v17, v17                                     // 00000000BD1C: 7E224111
	v_exp_f32_e32 v18, v18                                     // 00000000BD20: 7E244112
	v_exp_f32_e32 v19, v19                                     // 00000000BD24: 7E264113
	v_max_f32_e32 v168, v183, v165                             // 00000000BD28: 17514BB7
	v_mul_f32_e64 v204, -s46, v168                             // 00000000BD2C: D10500CC 2003502E
	v_mov_b32_e32 v205, v204                                   // 00000000BD34: 7F9A03CC
	v_pk_fma_f32 v[20:21], v[20:21], s[46:47], v[204:205]      // 00000000BD38: D3B04014 1F305D14
	v_pk_fma_f32 v[22:23], v[22:23], s[46:47], v[204:205]      // 00000000BD40: D3B04016 1F305D16
	v_exp_f32_e32 v20, v20                                     // 00000000BD48: 7E284114
	v_exp_f32_e32 v21, v21                                     // 00000000BD4C: 7E2A4115
	v_exp_f32_e32 v22, v22                                     // 00000000BD50: 7E2C4116
	v_exp_f32_e32 v23, v23                                     // 00000000BD54: 7E2E4117
	v_pk_fma_f32 v[24:25], v[24:25], s[46:47], v[204:205]      // 00000000BD58: D3B04018 1F305D18
	v_pk_fma_f32 v[26:27], v[26:27], s[46:47], v[204:205]      // 00000000BD60: D3B0401A 1F305D1A
	v_exp_f32_e32 v24, v24                                     // 00000000BD68: 7E304118
	v_exp_f32_e32 v25, v25                                     // 00000000BD6C: 7E324119
	v_exp_f32_e32 v26, v26                                     // 00000000BD70: 7E34411A
	v_exp_f32_e32 v27, v27                                     // 00000000BD74: 7E36411B
	v_pk_fma_f32 v[28:29], v[28:29], s[46:47], v[204:205]      // 00000000BD78: D3B0401C 1F305D1C
	v_pk_fma_f32 v[30:31], v[30:31], s[46:47], v[204:205]      // 00000000BD80: D3B0401E 1F305D1E
	v_exp_f32_e32 v28, v28                                     // 00000000BD88: 7E38411C
	v_exp_f32_e32 v29, v29                                     // 00000000BD8C: 7E3A411D
	v_exp_f32_e32 v30, v30                                     // 00000000BD90: 7E3C411E
	v_exp_f32_e32 v31, v31                                     // 00000000BD94: 7E3E411F
	v_pk_fma_f32 v[32:33], v[32:33], s[46:47], v[204:205]      // 00000000BD98: D3B04020 1F305D20
	v_pk_fma_f32 v[34:35], v[34:35], s[46:47], v[204:205]      // 00000000BDA0: D3B04022 1F305D22
	v_exp_f32_e32 v32, v32                                     // 00000000BDA8: 7E404120
	v_exp_f32_e32 v33, v33                                     // 00000000BDAC: 7E424121
	v_exp_f32_e32 v34, v34                                     // 00000000BDB0: 7E444122
	v_exp_f32_e32 v35, v35                                     // 00000000BDB4: 7E464123
	v_max_f32_e32 v169, v184, v166                             // 00000000BDB8: 17534DB8
	v_mul_f32_e64 v204, -s46, v169                             // 00000000BDBC: D10500CC 2003522E
	v_mov_b32_e32 v205, v204                                   // 00000000BDC4: 7F9A03CC
	v_pk_fma_f32 v[36:37], v[36:37], s[46:47], v[204:205]      // 00000000BDC8: D3B04024 1F305D24
	v_pk_fma_f32 v[38:39], v[38:39], s[46:47], v[204:205]      // 00000000BDD0: D3B04026 1F305D26
	v_exp_f32_e32 v36, v36                                     // 00000000BDD8: 7E484124
	v_exp_f32_e32 v37, v37                                     // 00000000BDDC: 7E4A4125
	v_exp_f32_e32 v38, v38                                     // 00000000BDE0: 7E4C4126
	v_exp_f32_e32 v39, v39                                     // 00000000BDE4: 7E4E4127
	v_pk_fma_f32 v[40:41], v[40:41], s[46:47], v[204:205]      // 00000000BDE8: D3B04028 1F305D28
	v_pk_fma_f32 v[42:43], v[42:43], s[46:47], v[204:205]      // 00000000BDF0: D3B0402A 1F305D2A
	v_exp_f32_e32 v40, v40                                     // 00000000BDF8: 7E504128
	v_exp_f32_e32 v41, v41                                     // 00000000BDFC: 7E524129
	v_exp_f32_e32 v42, v42                                     // 00000000BE00: 7E54412A
	v_exp_f32_e32 v43, v43                                     // 00000000BE04: 7E56412B
	v_pk_fma_f32 v[44:45], v[44:45], s[46:47], v[204:205]      // 00000000BE08: D3B0402C 1F305D2C
	v_pk_fma_f32 v[46:47], v[46:47], s[46:47], v[204:205]      // 00000000BE10: D3B0402E 1F305D2E
	v_exp_f32_e32 v44, v44                                     // 00000000BE18: 7E58412C
	v_exp_f32_e32 v45, v45                                     // 00000000BE1C: 7E5A412D
	v_exp_f32_e32 v46, v46                                     // 00000000BE20: 7E5C412E
	v_exp_f32_e32 v47, v47                                     // 00000000BE24: 7E5E412F
	v_pk_fma_f32 v[48:49], v[48:49], s[46:47], v[204:205]      // 00000000BE28: D3B04030 1F305D30
	v_pk_fma_f32 v[50:51], v[50:51], s[46:47], v[204:205]      // 00000000BE30: D3B04032 1F305D32
	v_exp_f32_e32 v48, v48                                     // 00000000BE38: 7E604130
	v_exp_f32_e32 v49, v49                                     // 00000000BE3C: 7E624131
	v_exp_f32_e32 v50, v50                                     // 00000000BE40: 7E644132
	v_exp_f32_e32 v51, v51                                     // 00000000BE44: 7E664133
	v_mul_f32_dpp v52, v157, v4 row_newbcast:0 row_mask:0xf bank_mask:0xf// 00000000BE48: 0A6808FA FF01509D
	v_mul_f32_dpp v53, v157, v5 row_newbcast:1 row_mask:0xf bank_mask:0xf// 00000000BE50: 0A6A0AFA FF01519D
	v_mul_f32_dpp v54, v157, v6 row_newbcast:2 row_mask:0xf bank_mask:0xf// 00000000BE58: 0A6C0CFA FF01529D
	v_mul_f32_dpp v55, v157, v7 row_newbcast:3 row_mask:0xf bank_mask:0xf// 00000000BE60: 0A6E0EFA FF01539D
	v_mul_f32_dpp v56, v157, v8 row_newbcast:4 row_mask:0xf bank_mask:0xf// 00000000BE68: 0A7010FA FF01549D
	v_mul_f32_dpp v57, v157, v9 row_newbcast:5 row_mask:0xf bank_mask:0xf// 00000000BE70: 0A7212FA FF01559D
	v_mul_f32_dpp v58, v157, v10 row_newbcast:6 row_mask:0xf bank_mask:0xf// 00000000BE78: 0A7414FA FF01569D
	v_mul_f32_dpp v59, v157, v11 row_newbcast:7 row_mask:0xf bank_mask:0xf// 00000000BE80: 0A7616FA FF01579D
	v_mul_f32_dpp v60, v157, v12 row_newbcast:8 row_mask:0xf bank_mask:0xf// 00000000BE88: 0A7818FA FF01589D
	v_mul_f32_dpp v61, v157, v13 row_newbcast:9 row_mask:0xf bank_mask:0xf// 00000000BE90: 0A7A1AFA FF01599D
	v_mul_f32_dpp v62, v157, v14 row_newbcast:10 row_mask:0xf bank_mask:0xf// 00000000BE98: 0A7C1CFA FF015A9D
	v_mul_f32_dpp v63, v157, v15 row_newbcast:11 row_mask:0xf bank_mask:0xf// 00000000BEA0: 0A7E1EFA FF015B9D
	v_mul_f32_dpp v64, v157, v16 row_newbcast:12 row_mask:0xf bank_mask:0xf// 00000000BEA8: 0A8020FA FF015C9D
	v_mul_f32_dpp v65, v157, v17 row_newbcast:13 row_mask:0xf bank_mask:0xf// 00000000BEB0: 0A8222FA FF015D9D
	v_mul_f32_dpp v66, v157, v18 row_newbcast:14 row_mask:0xf bank_mask:0xf// 00000000BEB8: 0A8424FA FF015E9D
	v_mul_f32_dpp v67, v157, v19 row_newbcast:15 row_mask:0xf bank_mask:0xf// 00000000BEC0: 0A8626FA FF015F9D
	v_mul_f32_dpp v68, v157, v20 row_newbcast:0 row_mask:0xf bank_mask:0xf// 00000000BEC8: 0A8828FA FF01509D
	v_mul_f32_dpp v69, v157, v21 row_newbcast:1 row_mask:0xf bank_mask:0xf// 00000000BED0: 0A8A2AFA FF01519D
	v_mul_f32_dpp v70, v157, v22 row_newbcast:2 row_mask:0xf bank_mask:0xf// 00000000BED8: 0A8C2CFA FF01529D
	v_mul_f32_dpp v71, v157, v23 row_newbcast:3 row_mask:0xf bank_mask:0xf// 00000000BEE0: 0A8E2EFA FF01539D
	v_mul_f32_dpp v72, v157, v24 row_newbcast:4 row_mask:0xf bank_mask:0xf// 00000000BEE8: 0A9030FA FF01549D
	v_mul_f32_dpp v73, v157, v25 row_newbcast:5 row_mask:0xf bank_mask:0xf// 00000000BEF0: 0A9232FA FF01559D
	v_mul_f32_dpp v74, v157, v26 row_newbcast:6 row_mask:0xf bank_mask:0xf// 00000000BEF8: 0A9434FA FF01569D
	v_mul_f32_dpp v75, v157, v27 row_newbcast:7 row_mask:0xf bank_mask:0xf// 00000000BF00: 0A9636FA FF01579D
	v_mul_f32_dpp v76, v157, v28 row_newbcast:8 row_mask:0xf bank_mask:0xf// 00000000BF08: 0A9838FA FF01589D
	v_mul_f32_dpp v77, v157, v29 row_newbcast:9 row_mask:0xf bank_mask:0xf// 00000000BF10: 0A9A3AFA FF01599D
	v_mul_f32_dpp v78, v157, v30 row_newbcast:10 row_mask:0xf bank_mask:0xf// 00000000BF18: 0A9C3CFA FF015A9D
	v_mul_f32_dpp v79, v157, v31 row_newbcast:11 row_mask:0xf bank_mask:0xf// 00000000BF20: 0A9E3EFA FF015B9D
	v_mul_f32_dpp v80, v157, v32 row_newbcast:12 row_mask:0xf bank_mask:0xf// 00000000BF28: 0AA040FA FF015C9D
	v_mul_f32_dpp v81, v157, v33 row_newbcast:13 row_mask:0xf bank_mask:0xf// 00000000BF30: 0AA242FA FF015D9D
	v_mul_f32_dpp v82, v157, v34 row_newbcast:14 row_mask:0xf bank_mask:0xf// 00000000BF38: 0AA444FA FF015E9D
	v_mul_f32_dpp v83, v157, v35 row_newbcast:15 row_mask:0xf bank_mask:0xf// 00000000BF40: 0AA646FA FF015F9D
	v_mul_f32_dpp v84, v157, v36 row_newbcast:0 row_mask:0xf bank_mask:0xf// 00000000BF48: 0AA848FA FF01509D
	v_mul_f32_dpp v85, v157, v37 row_newbcast:1 row_mask:0xf bank_mask:0xf// 00000000BF50: 0AAA4AFA FF01519D
	v_mul_f32_dpp v86, v157, v38 row_newbcast:2 row_mask:0xf bank_mask:0xf// 00000000BF58: 0AAC4CFA FF01529D
	v_mul_f32_dpp v87, v157, v39 row_newbcast:3 row_mask:0xf bank_mask:0xf// 00000000BF60: 0AAE4EFA FF01539D
	v_mul_f32_dpp v88, v157, v40 row_newbcast:4 row_mask:0xf bank_mask:0xf// 00000000BF68: 0AB050FA FF01549D
	v_mul_f32_dpp v89, v157, v41 row_newbcast:5 row_mask:0xf bank_mask:0xf// 00000000BF70: 0AB252FA FF01559D
	v_mul_f32_dpp v90, v157, v42 row_newbcast:6 row_mask:0xf bank_mask:0xf// 00000000BF78: 0AB454FA FF01569D
	v_mul_f32_dpp v91, v157, v43 row_newbcast:7 row_mask:0xf bank_mask:0xf// 00000000BF80: 0AB656FA FF01579D
	v_mul_f32_dpp v92, v157, v44 row_newbcast:8 row_mask:0xf bank_mask:0xf// 00000000BF88: 0AB858FA FF01589D
	v_mul_f32_dpp v93, v157, v45 row_newbcast:9 row_mask:0xf bank_mask:0xf// 00000000BF90: 0ABA5AFA FF01599D
	v_mul_f32_dpp v94, v157, v46 row_newbcast:10 row_mask:0xf bank_mask:0xf// 00000000BF98: 0ABC5CFA FF015A9D
	v_mul_f32_dpp v95, v157, v47 row_newbcast:11 row_mask:0xf bank_mask:0xf// 00000000BFA0: 0ABE5EFA FF015B9D
	v_mul_f32_dpp v96, v157, v48 row_newbcast:12 row_mask:0xf bank_mask:0xf// 00000000BFA8: 0AC060FA FF015C9D
	v_mul_f32_dpp v97, v157, v49 row_newbcast:13 row_mask:0xf bank_mask:0xf// 00000000BFB0: 0AC262FA FF015D9D
	v_mul_f32_dpp v98, v157, v50 row_newbcast:14 row_mask:0xf bank_mask:0xf// 00000000BFB8: 0AC464FA FF015E9D
	v_mul_f32_dpp v99, v157, v51 row_newbcast:15 row_mask:0xf bank_mask:0xf// 00000000BFC0: 0AC666FA FF015F9D
	v_mov_b32_e32 v182, 0x358637bd                             // 00000000BFC8: 7F6C02FF 358637BD
	v_max3_f32 v182, |v52|, |v53|, v182                        // 00000000BFD0: D1D303B6 06DA6B34
	v_max3_f32 v182, |v54|, |v55|, v182                        // 00000000BFD8: D1D303B6 06DA6F36
	v_max3_f32 v182, |v56|, |v57|, v182                        // 00000000BFE0: D1D303B6 06DA7338
	v_max3_f32 v182, |v58|, |v59|, v182                        // 00000000BFE8: D1D303B6 06DA773A
	v_max3_f32 v182, |v60|, |v61|, v182                        // 00000000BFF0: D1D303B6 06DA7B3C
	v_max3_f32 v182, |v62|, |v63|, v182                        // 00000000BFF8: D1D303B6 06DA7F3E
	v_max3_f32 v182, |v64|, |v65|, v182                        // 00000000C000: D1D303B6 06DA8340
	v_max3_f32 v182, |v66|, |v67|, v182                        // 00000000C008: D1D303B6 06DA8742
	v_mov_b32_e32 v183, 0x358637bd                             // 00000000C010: 7F6E02FF 358637BD
	v_max3_f32 v183, |v68|, |v69|, v183                        // 00000000C018: D1D303B7 06DE8B44
	v_max3_f32 v183, |v70|, |v71|, v183                        // 00000000C020: D1D303B7 06DE8F46
	v_max3_f32 v183, |v72|, |v73|, v183                        // 00000000C028: D1D303B7 06DE9348
	v_max3_f32 v183, |v74|, |v75|, v183                        // 00000000C030: D1D303B7 06DE974A
	v_max3_f32 v183, |v76|, |v77|, v183                        // 00000000C038: D1D303B7 06DE9B4C
	v_max3_f32 v183, |v78|, |v79|, v183                        // 00000000C040: D1D303B7 06DE9F4E
	v_max3_f32 v183, |v80|, |v81|, v183                        // 00000000C048: D1D303B7 06DEA350
	v_max3_f32 v183, |v82|, |v83|, v183                        // 00000000C050: D1D303B7 06DEA752
	v_mov_b32_e32 v184, 0x358637bd                             // 00000000C058: 7F7002FF 358637BD
	v_max3_f32 v184, |v84|, |v85|, v184                        // 00000000C060: D1D303B8 06E2AB54
	v_max3_f32 v184, |v86|, |v87|, v184                        // 00000000C068: D1D303B8 06E2AF56
	v_max3_f32 v184, |v88|, |v89|, v184                        // 00000000C070: D1D303B8 06E2B358
	v_max3_f32 v184, |v90|, |v91|, v184                        // 00000000C078: D1D303B8 06E2B75A
	v_max3_f32 v184, |v92|, |v93|, v184                        // 00000000C080: D1D303B8 06E2BB5C
	v_max3_f32 v184, |v94|, |v95|, v184                        // 00000000C088: D1D303B8 06E2BF5E
	v_max3_f32 v184, |v96|, |v97|, v184                        // 00000000C090: D1D303B8 06E2C360
	v_max3_f32 v184, |v98|, |v99|, v184                        // 00000000C098: D1D303B8 06E2C762
	ds_bpermute_b32 v188, v208, v182                           // 00000000C0A0: D87E0000 BC00B6D0
	ds_bpermute_b32 v189, v209, v182                           // 00000000C0A8: D87E0000 BD00B6D1
	ds_bpermute_b32 v190, v210, v182                           // 00000000C0B0: D87E0000 BE00B6D2
	ds_bpermute_b32 v191, v208, v183                           // 00000000C0B8: D87E0000 BF00B7D0
	ds_bpermute_b32 v192, v209, v183                           // 00000000C0C0: D87E0000 C000B7D1
	ds_bpermute_b32 v193, v210, v183                           // 00000000C0C8: D87E0000 C100B7D2
	ds_bpermute_b32 v194, v208, v184                           // 00000000C0D0: D87E0000 C200B8D0
	ds_bpermute_b32 v195, v209, v184                           // 00000000C0D8: D87E0000 C300B8D1
	ds_bpermute_b32 v196, v210, v184                           // 00000000C0E0: D87E0000 C400B8D2
	s_waitcnt lgkmcnt(6)                                       // 00000000C0E8: BF8CC67F
	v_max3_f32 v182, v188, v189, v182                          // 00000000C0EC: D1D300B6 06DB7BBC
	v_max_f32_e32 v182, v190, v182                             // 00000000C0F4: 176D6DBE
	s_waitcnt lgkmcnt(3)                                       // 00000000C0F8: BF8CC37F
	v_max3_f32 v183, v191, v192, v183                          // 00000000C0FC: D1D300B7 06DF81BF
	v_max_f32_e32 v183, v193, v183                             // 00000000C104: 176F6FC1
	s_waitcnt lgkmcnt(0)                                       // 00000000C108: BF8CC07F
	v_max3_f32 v184, v194, v195, v184                          // 00000000C10C: D1D300B8 06E387C2
	v_max_f32_e32 v184, v196, v184                             // 00000000C114: 177171C4
	ds_write_b128 v249, v[182:185] offset:4096                 // 00000000C118: D9BE1000 0000B6F9
	buffer_load_dword v154, v235, s[20:23], 0 offen            // 00000000C120: E0501000 80059AEB
	v_sub_f32_e32 v170, v164, v167                             // 00000000C128: 05554FA4
	v_cmp_eq_u32_e64 s[98:99], v222, v164                      // 00000000C12C: D0CA0062 000349DE
	v_cndmask_b32_e64 v170, v170, 0, s[98:99]                  // 00000000C134: D10000AA 018901AA
	v_mov_b32_e32 v164, v167                                   // 00000000C13C: 7F4803A7
	v_mul_f32_e32 v170, s46, v170                              // 00000000C140: 0B55542E
	v_exp_f32_e32 v170, v170                                   // 00000000C144: 7F5441AA
	v_sub_f32_e32 v172, v165, v168                             // 00000000C148: 055951A5
	v_cmp_eq_u32_e64 s[98:99], v222, v165                      // 00000000C14C: D0CA0062 00034BDE
	v_cndmask_b32_e64 v172, v172, 0, s[98:99]                  // 00000000C154: D10000AC 018901AC
	v_mov_b32_e32 v165, v168                                   // 00000000C15C: 7F4A03A8
	v_mul_f32_e32 v172, s46, v172                              // 00000000C160: 0B59582E
	v_exp_f32_e32 v172, v172                                   // 00000000C164: 7F5841AC
	v_sub_f32_e32 v174, v166, v169                             // 00000000C168: 055D53A6
	v_cmp_eq_u32_e64 s[98:99], v222, v166                      // 00000000C16C: D0CA0062 00034DDE
	v_cndmask_b32_e64 v174, v174, 0, s[98:99]                  // 00000000C174: D10000AE 018901AE
	v_mov_b32_e32 v166, v169                                   // 00000000C17C: 7F4C03A9
	v_mul_f32_e32 v174, s46, v174                              // 00000000C180: 0B5D5C2E
	v_exp_f32_e32 v174, v174                                   // 00000000C184: 7F5C41AE
	v_mov_b32_e32 v171, v170                                   // 00000000C188: 7F5603AA
	v_mov_b32_e32 v173, v172                                   // 00000000C18C: 7F5A03AC
	v_mov_b32_e32 v175, v174                                   // 00000000C190: 7F5E03AE
	s_waitcnt lgkmcnt(0)                                       // 00000000C194: BF8CC07F
	s_barrier                                                  // 00000000C198: BF8A0000
	buffer_load_dword v156, v236, s[24:27], 0 offen            // 00000000C19C: E0501000 80069CEC
	v_mul_f32_e32 v176, v170, v176                             // 00000000C1A4: 0B6161AA
	v_mov_b32_e32 v177, 0                                      // 00000000C1A8: 7F620280
	v_pk_add_f32 v[176:177], v[4:5], v[176:177]                // 00000000C1AC: D3B240B0 18036104
	v_pk_add_f32 v[176:177], v[6:7], v[176:177]                // 00000000C1B4: D3B240B0 18036106
	v_pk_add_f32 v[176:177], v[8:9], v[176:177]                // 00000000C1BC: D3B240B0 18036108
	v_pk_add_f32 v[176:177], v[10:11], v[176:177]              // 00000000C1C4: D3B240B0 1803610A
	v_pk_add_f32 v[176:177], v[12:13], v[176:177]              // 00000000C1CC: D3B240B0 1803610C
	v_pk_add_f32 v[176:177], v[14:15], v[176:177]              // 00000000C1D4: D3B240B0 1803610E
	v_pk_add_f32 v[176:177], v[16:17], v[176:177]              // 00000000C1DC: D3B240B0 18036110
	v_pk_add_f32 v[176:177], v[18:19], v[176:177]              // 00000000C1E4: D3B240B0 18036112
	v_add_f32_e32 v176, v177, v176                             // 00000000C1EC: 036161B1
	v_mul_f32_e32 v178, v172, v178                             // 00000000C1F0: 0B6565AC
	v_mov_b32_e32 v179, 0                                      // 00000000C1F4: 7F660280
	v_pk_add_f32 v[178:179], v[20:21], v[178:179]              // 00000000C1F8: D3B240B2 18036514
	v_pk_add_f32 v[178:179], v[22:23], v[178:179]              // 00000000C200: D3B240B2 18036516
	v_pk_add_f32 v[178:179], v[24:25], v[178:179]              // 00000000C208: D3B240B2 18036518
	v_pk_add_f32 v[178:179], v[26:27], v[178:179]              // 00000000C210: D3B240B2 1803651A
	v_pk_add_f32 v[178:179], v[28:29], v[178:179]              // 00000000C218: D3B240B2 1803651C
	v_pk_add_f32 v[178:179], v[30:31], v[178:179]              // 00000000C220: D3B240B2 1803651E
	v_pk_add_f32 v[178:179], v[32:33], v[178:179]              // 00000000C228: D3B240B2 18036520
	v_pk_add_f32 v[178:179], v[34:35], v[178:179]              // 00000000C230: D3B240B2 18036522
	v_add_f32_e32 v178, v179, v178                             // 00000000C238: 036565B3
	v_mul_f32_e32 v180, v174, v180                             // 00000000C23C: 0B6969AE
	v_mov_b32_e32 v181, 0                                      // 00000000C240: 7F6A0280
	v_pk_add_f32 v[180:181], v[36:37], v[180:181]              // 00000000C244: D3B240B4 18036924
	v_pk_add_f32 v[180:181], v[38:39], v[180:181]              // 00000000C24C: D3B240B4 18036926
	v_pk_add_f32 v[180:181], v[40:41], v[180:181]              // 00000000C254: D3B240B4 18036928
	v_pk_add_f32 v[180:181], v[42:43], v[180:181]              // 00000000C25C: D3B240B4 1803692A
	v_pk_add_f32 v[180:181], v[44:45], v[180:181]              // 00000000C264: D3B240B4 1803692C
	v_pk_add_f32 v[180:181], v[46:47], v[180:181]              // 00000000C26C: D3B240B4 1803692E
	v_pk_add_f32 v[180:181], v[48:49], v[180:181]              // 00000000C274: D3B240B4 18036930
	v_pk_add_f32 v[180:181], v[50:51], v[180:181]              // 00000000C27C: D3B240B4 18036932
	v_add_f32_e32 v180, v181, v180                             // 00000000C284: 036969B5
	ds_read_b128 v[188:191], v250 offset:4096                  // 00000000C288: D9FE1000 BC0000FA
	ds_read_b128 v[192:195], v250 offset:4352                  // 00000000C290: D9FE1100 C00000FA
	ds_read_b128 v[196:199], v250 offset:4608                  // 00000000C298: D9FE1200 C40000FA
	ds_read_b128 v[200:203], v250 offset:4864                  // 00000000C2A0: D9FE1300 C80000FA
	s_waitcnt lgkmcnt(0)                                       // 00000000C2A8: BF8CC07F
	v_max3_f32 v182, v188, v192, v182                          // 00000000C2AC: D1D300B6 06DB81BC
	v_max3_f32 v183, v189, v193, v183                          // 00000000C2B4: D1D300B7 06DF83BD
	v_max3_f32 v184, v190, v194, v184                          // 00000000C2BC: D1D300B8 06E385BE
	v_max3_f32 v182, v196, v200, v182                          // 00000000C2C4: D1D300B6 06DB91C4
	v_max3_f32 v183, v197, v201, v183                          // 00000000C2CC: D1D300B7 06DF93C5
	v_max3_f32 v184, v198, v202, v184                          // 00000000C2D4: D1D300B8 06E395C6
	v_rcp_f32_e32 v182, v182                                   // 00000000C2DC: 7F6C45B6
	v_rcp_f32_e32 v183, v183                                   // 00000000C2E0: 7F6E45B7
	v_rcp_f32_e32 v184, v184                                   // 00000000C2E4: 7F7045B8
	v_mul_f32_e32 v182, 0x43700000, v182                       // 00000000C2E8: 0B6D6CFF 43700000
	v_mul_f32_e32 v183, 0x43700000, v183                       // 00000000C2F0: 0B6F6EFF 43700000
	v_mul_f32_e32 v184, 0x43700000, v184                       // 00000000C2F8: 0B7170FF 43700000
	v_mov_b32_e32 v186, v184                                   // 00000000C300: 7F7403B8
	v_mov_b32_e32 v187, v184                                   // 00000000C304: 7F7603B8
	v_mov_b32_e32 v184, v183                                   // 00000000C308: 7F7003B7
	v_mov_b32_e32 v185, v183                                   // 00000000C30C: 7F7203B7
	v_mov_b32_e32 v183, v182                                   // 00000000C310: 7F6E03B6
	v_pk_mul_f32 v[4:5], v[182:183], v[52:53]                  // 00000000C314: D3B14004 180269B6
	v_pk_mul_f32 v[6:7], v[182:183], v[54:55]                  // 00000000C31C: D3B14006 18026DB6
	v_pk_mul_f32 v[8:9], v[182:183], v[56:57]                  // 00000000C324: D3B14008 180271B6
	v_pk_mul_f32 v[10:11], v[182:183], v[58:59]                // 00000000C32C: D3B1400A 180275B6
	v_pk_mul_f32 v[12:13], v[182:183], v[60:61]                // 00000000C334: D3B1400C 180279B6
	v_pk_mul_f32 v[14:15], v[182:183], v[62:63]                // 00000000C33C: D3B1400E 18027DB6
	v_pk_mul_f32 v[16:17], v[182:183], v[64:65]                // 00000000C344: D3B14010 180281B6
	v_pk_mul_f32 v[18:19], v[182:183], v[66:67]                // 00000000C34C: D3B14012 180285B6
	v_pk_mul_f32 v[20:21], v[184:185], v[68:69]                // 00000000C354: D3B14014 180289B8
	v_pk_mul_f32 v[22:23], v[184:185], v[70:71]                // 00000000C35C: D3B14016 18028DB8
	v_pk_mul_f32 v[24:25], v[184:185], v[72:73]                // 00000000C364: D3B14018 180291B8
	v_pk_mul_f32 v[26:27], v[184:185], v[74:75]                // 00000000C36C: D3B1401A 180295B8
	v_pk_mul_f32 v[28:29], v[184:185], v[76:77]                // 00000000C374: D3B1401C 180299B8
	v_pk_mul_f32 v[30:31], v[184:185], v[78:79]                // 00000000C37C: D3B1401E 18029DB8
	v_pk_mul_f32 v[32:33], v[184:185], v[80:81]                // 00000000C384: D3B14020 1802A1B8
	v_pk_mul_f32 v[34:35], v[184:185], v[82:83]                // 00000000C38C: D3B14022 1802A5B8
	v_pk_mul_f32 v[36:37], v[186:187], v[84:85]                // 00000000C394: D3B14024 1802A9BA
	v_pk_mul_f32 v[38:39], v[186:187], v[86:87]                // 00000000C39C: D3B14026 1802ADBA
	v_pk_mul_f32 v[40:41], v[186:187], v[88:89]                // 00000000C3A4: D3B14028 1802B1BA
	v_pk_mul_f32 v[42:43], v[186:187], v[90:91]                // 00000000C3AC: D3B1402A 1802B5BA
	v_pk_mul_f32 v[44:45], v[186:187], v[92:93]                // 00000000C3B4: D3B1402C 1802B9BA
	v_pk_mul_f32 v[46:47], v[186:187], v[94:95]                // 00000000C3BC: D3B1402E 1802BDBA
	v_pk_mul_f32 v[48:49], v[186:187], v[96:97]                // 00000000C3C4: D3B14030 1802C1BA
	v_pk_mul_f32 v[50:51], v[186:187], v[98:99]                // 00000000C3CC: D3B14032 1802C5BA
	v_cvt_pk_fp8_f32 v4, v4, v5                                // 00000000C3D4: D2A20004 00020B04
	v_cvt_pk_fp8_f32 v4, v6, v7 op_sel:[0,0,1]                 // 00000000C3DC: D2A24004 00020F06
	v_cvt_pk_fp8_f32 v5, v8, v9                                // 00000000C3E4: D2A20005 00021308
	v_cvt_pk_fp8_f32 v5, v10, v11 op_sel:[0,0,1]               // 00000000C3EC: D2A24005 0002170A
	v_cvt_pk_fp8_f32 v6, v12, v13                              // 00000000C3F4: D2A20006 00021B0C
	v_cvt_pk_fp8_f32 v6, v14, v15 op_sel:[0,0,1]               // 00000000C3FC: D2A24006 00021F0E
	v_cvt_pk_fp8_f32 v7, v16, v17                              // 00000000C404: D2A20007 00022310
	v_cvt_pk_fp8_f32 v7, v18, v19 op_sel:[0,0,1]               // 00000000C40C: D2A24007 00022712
	v_cvt_pk_fp8_f32 v8, v20, v21                              // 00000000C414: D2A20008 00022B14
	v_cvt_pk_fp8_f32 v8, v22, v23 op_sel:[0,0,1]               // 00000000C41C: D2A24008 00022F16
	v_cvt_pk_fp8_f32 v9, v24, v25                              // 00000000C424: D2A20009 00023318
	v_cvt_pk_fp8_f32 v9, v26, v27 op_sel:[0,0,1]               // 00000000C42C: D2A24009 0002371A
	v_cvt_pk_fp8_f32 v10, v28, v29                             // 00000000C434: D2A2000A 00023B1C
	v_cvt_pk_fp8_f32 v10, v30, v31 op_sel:[0,0,1]              // 00000000C43C: D2A2400A 00023F1E
	v_cvt_pk_fp8_f32 v11, v32, v33                             // 00000000C444: D2A2000B 00024320
	v_cvt_pk_fp8_f32 v11, v34, v35 op_sel:[0,0,1]              // 00000000C44C: D2A2400B 00024722
	v_cvt_pk_fp8_f32 v12, v36, v37                             // 00000000C454: D2A2000C 00024B24
	v_cvt_pk_fp8_f32 v12, v38, v39 op_sel:[0,0,1]              // 00000000C45C: D2A2400C 00024F26
	v_cvt_pk_fp8_f32 v13, v40, v41                             // 00000000C464: D2A2000D 00025328
	v_cvt_pk_fp8_f32 v13, v42, v43 op_sel:[0,0,1]              // 00000000C46C: D2A2400D 0002572A
	v_cvt_pk_fp8_f32 v14, v44, v45                             // 00000000C474: D2A2000E 00025B2C
	v_cvt_pk_fp8_f32 v14, v46, v47 op_sel:[0,0,1]              // 00000000C47C: D2A2400E 00025F2E
	v_cvt_pk_fp8_f32 v15, v48, v49                             // 00000000C484: D2A2000F 00026330
	v_cvt_pk_fp8_f32 v15, v50, v51 op_sel:[0,0,1]              // 00000000C48C: D2A2400F 00026732
	ds_write_b32 v251, v4 offset:8192                          // 00000000C494: D81A2000 000004FB
	ds_write_b32 v251, v5 offset:9216                          // 00000000C49C: D81A2400 000005FB
	ds_write_b32 v251, v6 offset:10240                         // 00000000C4A4: D81A2800 000006FB
	ds_write_b32 v251, v7 offset:11264                         // 00000000C4AC: D81A2C00 000007FB
	ds_write_b32 v251, v8 offset:12288                         // 00000000C4B4: D81A3000 000008FB
	ds_write_b32 v251, v9 offset:13312                         // 00000000C4BC: D81A3400 000009FB
	ds_write_b32 v251, v10 offset:14336                        // 00000000C4C4: D81A3800 00000AFB
	ds_write_b32 v251, v11 offset:15360                        // 00000000C4CC: D81A3C00 00000BFB
	ds_write_b32 v251, v12 offset:16384                        // 00000000C4D4: D81A4000 00000CFB
	ds_write_b32 v251, v13 offset:17408                        // 00000000C4DC: D81A4400 00000DFB
	ds_write_b32 v251, v14 offset:18432                        // 00000000C4E4: D81A4800 00000EFB
	ds_write_b32 v251, v15 offset:19456                        // 00000000C4EC: D81A4C00 00000FFB
	v_rcp_f32_e32 v158, v182                                   // 00000000C4F4: 7F3C45B6
	v_rcp_f32_e32 v160, v184                                   // 00000000C4F8: 7F4045B8
	v_rcp_f32_e32 v162, v186                                   // 00000000C4FC: 7F4445BA
	v_mov_b32_e32 v159, v158                                   // 00000000C500: 7F3E039E
	v_mov_b32_e32 v161, v160                                   // 00000000C504: 7F4203A0
	v_mov_b32_e32 v163, v162                                   // 00000000C508: 7F4603A2
	v_pk_add_f32 v[124:125], v[124:125], v[100:101]            // 00000000C50C: D3B2407C 1802C97C
	v_pk_add_f32 v[126:127], v[126:127], v[102:103]            // 00000000C514: D3B2407E 1802CD7E
	v_pk_add_f32 v[128:129], v[128:129], v[104:105]            // 00000000C51C: D3B24080 1802D180
	v_pk_add_f32 v[130:131], v[130:131], v[106:107]            // 00000000C524: D3B24082 1802D582
	v_pk_add_f32 v[132:133], v[132:133], v[108:109]            // 00000000C52C: D3B24084 1802D984
	v_pk_add_f32 v[134:135], v[134:135], v[110:111]            // 00000000C534: D3B24086 1802DD86
	v_pk_add_f32 v[136:137], v[136:137], v[112:113]            // 00000000C53C: D3B24088 1802E188
	v_pk_add_f32 v[138:139], v[138:139], v[114:115]            // 00000000C544: D3B2408A 1802E58A
	v_pk_add_f32 v[140:141], v[140:141], v[116:117]            // 00000000C54C: D3B2408C 1802E98C
	v_pk_add_f32 v[142:143], v[142:143], v[118:119]            // 00000000C554: D3B2408E 1802ED8E
	v_pk_add_f32 v[144:145], v[144:145], v[120:121]            // 00000000C55C: D3B24090 1802F190
	v_pk_add_f32 v[146:147], v[146:147], v[122:123]            // 00000000C564: D3B24092 1802F592
	s_waitcnt lgkmcnt(0)                                       // 00000000C56C: BF8CC07F
	s_barrier                                                  // 00000000C570: BF8A0000
	ds_read_b128 v[4:7], v252 offset:8192                      // 00000000C574: D9FE2000 040000FC
	ds_read_b128 v[8:11], v252 offset:9216                     // 00000000C57C: D9FE2400 080000FC
	ds_read_b128 v[12:15], v252 offset:10240                   // 00000000C584: D9FE2800 0C0000FC
	ds_read_b128 v[16:19], v252 offset:11264                   // 00000000C58C: D9FE2C00 100000FC
	ds_read_b128 v[20:23], v252 offset:12288                   // 00000000C594: D9FE3000 140000FC
	ds_read_b128 v[24:27], v252 offset:13312                   // 00000000C59C: D9FE3400 180000FC
	ds_read_b128 v[28:31], v252 offset:14336                   // 00000000C5A4: D9FE3800 1C0000FC
	ds_read_b128 v[32:35], v252 offset:15360                   // 00000000C5AC: D9FE3C00 200000FC
	ds_read_b128 v[36:39], v252 offset:16384                   // 00000000C5B4: D9FE4000 240000FC
	ds_read_b128 v[40:43], v252 offset:17408                   // 00000000C5BC: D9FE4400 280000FC
	ds_read_b128 v[44:47], v252 offset:18432                   // 00000000C5C4: D9FE4800 2C0000FC
	ds_read_b128 v[48:51], v252 offset:19456                   // 00000000C5CC: D9FE4C00 300000FC
	s_waitcnt vmcnt(10)                                        // 00000000C5D4: BF8C0F7A
	s_waitcnt lgkmcnt(11)                                      // 00000000C5D8: BF8CCB7F
	v_mfma_f32_16x16x32_fp8_fp8 v[100:103], a[120:121], v[4:5], 0// 00000000C5DC: D3F30064 0A020978
	v_mfma_f32_16x16x32_fp8_fp8 v[104:107], a[136:137], v[4:5], 0// 00000000C5E4: D3F30068 0A020988
	v_mfma_f32_16x16x32_fp8_fp8 v[100:103], a[122:123], v[6:7], v[100:103]// 00000000C5EC: D3F30064 0D920D7A
	buffer_load_dwordx4 a[88:91], v231, s[16:19], 0 offen      // 00000000C5F4: E05C1000 808458E7
	v_mfma_f32_16x16x32_fp8_fp8 v[104:107], a[138:139], v[6:7], v[104:107]// 00000000C5FC: D3F30068 0DA20D8A
	s_waitcnt lgkmcnt(10)                                      // 00000000C604: BF8CCA7F
	v_mfma_f32_16x16x32_fp8_fp8 v[100:103], a[124:125], v[8:9], v[100:103]// 00000000C608: D3F30064 0D92117C
	v_mfma_f32_16x16x32_fp8_fp8 v[104:107], a[140:141], v[8:9], v[104:107]// 00000000C610: D3F30068 0DA2118C
	v_mfma_f32_16x16x32_fp8_fp8 v[100:103], a[126:127], v[10:11], v[100:103]// 00000000C618: D3F30064 0D92157E
	buffer_load_dwordx4 a[92:95], v232, s[16:19], 0 offen      // 00000000C620: E05C1000 80845CE8
	v_mfma_f32_16x16x32_fp8_fp8 v[104:107], a[142:143], v[10:11], v[104:107]// 00000000C628: D3F30068 0DA2158E
	s_waitcnt lgkmcnt(9)                                       // 00000000C630: BF8CC97F
	v_mfma_f32_16x16x32_fp8_fp8 v[100:103], a[128:129], v[12:13], v[100:103]// 00000000C634: D3F30064 0D921980
	v_mfma_f32_16x16x32_fp8_fp8 v[104:107], a[144:145], v[12:13], v[104:107]// 00000000C63C: D3F30068 0DA21990
	v_mfma_f32_16x16x32_fp8_fp8 v[100:103], a[130:131], v[14:15], v[100:103]// 00000000C644: D3F30064 0D921D82
	buffer_load_dwordx4 a[96:99], v233, s[16:19], 0 offen      // 00000000C64C: E05C1000 808460E9
	v_mfma_f32_16x16x32_fp8_fp8 v[104:107], a[146:147], v[14:15], v[104:107]// 00000000C654: D3F30068 0DA21D92
	s_waitcnt lgkmcnt(8)                                       // 00000000C65C: BF8CC87F
	v_mfma_f32_16x16x32_fp8_fp8 v[100:103], a[132:133], v[16:17], v[100:103]// 00000000C660: D3F30064 0D922184
	v_mfma_f32_16x16x32_fp8_fp8 v[104:107], a[148:149], v[16:17], v[104:107]// 00000000C668: D3F30068 0DA22194
	v_mfma_f32_16x16x32_fp8_fp8 v[100:103], a[134:135], v[18:19], v[100:103]// 00000000C670: D3F30064 0D922586
	buffer_load_dwordx4 a[100:103], v234, s[16:19], 0 offen    // 00000000C678: E05C1000 808464EA
	v_mfma_f32_16x16x32_fp8_fp8 v[104:107], a[150:151], v[18:19], v[104:107]// 00000000C680: D3F30068 0DA22596
	s_waitcnt lgkmcnt(7)                                       // 00000000C688: BF8CC77F
	v_mfma_f32_16x16x32_fp8_fp8 v[108:111], a[120:121], v[20:21], 0// 00000000C68C: D3F3006C 0A022978
	v_mfma_f32_16x16x32_fp8_fp8 v[112:115], a[136:137], v[20:21], 0// 00000000C694: D3F30070 0A022988
	v_mfma_f32_16x16x32_fp8_fp8 v[108:111], a[122:123], v[22:23], v[108:111]// 00000000C69C: D3F3006C 0DB22D7A
	buffer_load_dwordx4 a[104:107], v231, s[16:19], 0 offen offset:1024// 00000000C6A4: E05C1400 808468E7
	v_mfma_f32_16x16x32_fp8_fp8 v[112:115], a[138:139], v[22:23], v[112:115]// 00000000C6AC: D3F30070 0DC22D8A
	s_waitcnt lgkmcnt(6)                                       // 00000000C6B4: BF8CC67F
	v_mfma_f32_16x16x32_fp8_fp8 v[108:111], a[124:125], v[24:25], v[108:111]// 00000000C6B8: D3F3006C 0DB2317C
	v_mfma_f32_16x16x32_fp8_fp8 v[112:115], a[140:141], v[24:25], v[112:115]// 00000000C6C0: D3F30070 0DC2318C
	v_mfma_f32_16x16x32_fp8_fp8 v[108:111], a[126:127], v[26:27], v[108:111]// 00000000C6C8: D3F3006C 0DB2357E
	buffer_load_dwordx4 a[108:111], v232, s[16:19], 0 offen offset:1024// 00000000C6D0: E05C1400 80846CE8
	v_mfma_f32_16x16x32_fp8_fp8 v[112:115], a[142:143], v[26:27], v[112:115]// 00000000C6D8: D3F30070 0DC2358E
	s_waitcnt lgkmcnt(5)                                       // 00000000C6E0: BF8CC57F
	v_mfma_f32_16x16x32_fp8_fp8 v[108:111], a[128:129], v[28:29], v[108:111]// 00000000C6E4: D3F3006C 0DB23980
	v_mfma_f32_16x16x32_fp8_fp8 v[112:115], a[144:145], v[28:29], v[112:115]// 00000000C6EC: D3F30070 0DC23990
	v_mfma_f32_16x16x32_fp8_fp8 v[108:111], a[130:131], v[30:31], v[108:111]// 00000000C6F4: D3F3006C 0DB23D82
	buffer_load_dwordx4 a[112:115], v233, s[16:19], 0 offen offset:1024// 00000000C6FC: E05C1400 808470E9
	v_mfma_f32_16x16x32_fp8_fp8 v[112:115], a[146:147], v[30:31], v[112:115]// 00000000C704: D3F30070 0DC23D92
	s_waitcnt lgkmcnt(4)                                       // 00000000C70C: BF8CC47F
	v_mfma_f32_16x16x32_fp8_fp8 v[108:111], a[132:133], v[32:33], v[108:111]// 00000000C710: D3F3006C 0DB24184
	v_mfma_f32_16x16x32_fp8_fp8 v[112:115], a[148:149], v[32:33], v[112:115]// 00000000C718: D3F30070 0DC24194
	v_mfma_f32_16x16x32_fp8_fp8 v[108:111], a[134:135], v[34:35], v[108:111]// 00000000C720: D3F3006C 0DB24586
	buffer_load_dwordx4 a[116:119], v234, s[16:19], 0 offen offset:1024// 00000000C728: E05C1400 808474EA
	v_mfma_f32_16x16x32_fp8_fp8 v[112:115], a[150:151], v[34:35], v[112:115]// 00000000C730: D3F30070 0DC24596
	s_waitcnt lgkmcnt(3)                                       // 00000000C738: BF8CC37F
	v_mfma_f32_16x16x32_fp8_fp8 v[116:119], a[120:121], v[36:37], 0// 00000000C73C: D3F30074 0A024978
	v_mfma_f32_16x16x32_fp8_fp8 v[120:123], a[136:137], v[36:37], 0// 00000000C744: D3F30078 0A024988
	v_mfma_f32_16x16x32_fp8_fp8 v[116:119], a[122:123], v[38:39], v[116:119]// 00000000C74C: D3F30074 0DD24D7A
	v_mfma_f32_16x16x32_fp8_fp8 v[120:123], a[138:139], v[38:39], v[120:123]// 00000000C754: D3F30078 0DE24D8A
	s_waitcnt lgkmcnt(2)                                       // 00000000C75C: BF8CC27F
	v_mfma_f32_16x16x32_fp8_fp8 v[116:119], a[124:125], v[40:41], v[116:119]// 00000000C760: D3F30074 0DD2517C
	v_mfma_f32_16x16x32_fp8_fp8 v[120:123], a[140:141], v[40:41], v[120:123]// 00000000C768: D3F30078 0DE2518C
	v_mfma_f32_16x16x32_fp8_fp8 v[116:119], a[126:127], v[42:43], v[116:119]// 00000000C770: D3F30074 0DD2557E
	v_mfma_f32_16x16x32_fp8_fp8 v[120:123], a[142:143], v[42:43], v[120:123]// 00000000C778: D3F30078 0DE2558E
	s_waitcnt lgkmcnt(1)                                       // 00000000C780: BF8CC17F
	v_mfma_f32_16x16x32_fp8_fp8 v[116:119], a[128:129], v[44:45], v[116:119]// 00000000C784: D3F30074 0DD25980
	v_mfma_f32_16x16x32_fp8_fp8 v[120:123], a[144:145], v[44:45], v[120:123]// 00000000C78C: D3F30078 0DE25990
	v_mfma_f32_16x16x32_fp8_fp8 v[116:119], a[130:131], v[46:47], v[116:119]// 00000000C794: D3F30074 0DD25D82
	v_mfma_f32_16x16x32_fp8_fp8 v[120:123], a[146:147], v[46:47], v[120:123]// 00000000C79C: D3F30078 0DE25D92
	s_waitcnt lgkmcnt(0)                                       // 00000000C7A4: BF8CC07F
	v_mfma_f32_16x16x32_fp8_fp8 v[116:119], a[132:133], v[48:49], v[116:119]// 00000000C7A8: D3F30074 0DD26184
	v_mfma_f32_16x16x32_fp8_fp8 v[120:123], a[148:149], v[48:49], v[120:123]// 00000000C7B0: D3F30078 0DE26194
	v_mfma_f32_16x16x32_fp8_fp8 v[116:119], a[134:135], v[50:51], v[116:119]// 00000000C7B8: D3F30074 0DD26586
	v_mfma_f32_16x16x32_fp8_fp8 v[120:123], a[150:151], v[50:51], v[120:123]// 00000000C7C0: D3F30078 0DE26596
	s_addk_i32 s64, 0x100                                      // 00000000C7C8: B7400100
	s_branch label_1608                                        // 00000000C7CC: BF82EE14

000000000000c7d0 <label_27F4>:
	s_cmp_lt_i32 s64, s62                                      // 00000000C7D0: BF043E40
	s_cbranch_scc0 label_465C                                  // 00000000C7D4: BF841E66
	s_waitcnt vmcnt(10)                                        // 00000000C7D8: BF8C0F7A
	v_mfma_f32_16x16x32_fp8_fp8 v[4:7], a[24:25], a[0:1], 0    // 00000000C7DC: D3F30004 1A020118
	s_add_u32 s12, s86, s69                                    // 00000000C7E4: 800C4556
	s_addc_u32 s13, s87, 0                                     // 00000000C7E8: 820D8057
	v_mfma_f32_16x16x32_fp8_fp8 v[4:7], a[26:27], a[2:3], v[4:7]// 00000000C7EC: D3F30004 1C12051A
	s_add_u32 s16, s88, s70                                    // 00000000C7F4: 80104658
	s_addc_u32 s17, s89, 0                                     // 00000000C7F8: 82118059
	v_mfma_f32_16x16x32_fp8_fp8 v[4:7], a[28:29], a[4:5], v[4:7]// 00000000C7FC: D3F30004 1C12091C
	buffer_load_dwordx4 a[56:59], v229, s[12:15], 0 offen      // 00000000C804: E05C1000 808338E5
	v_mfma_f32_16x16x32_fp8_fp8 v[4:7], a[30:31], a[6:7], v[4:7]// 00000000C80C: D3F30004 1C120D1E
	s_add_u32 s20, s90, s71                                    // 00000000C814: 8014475A
	s_addc_u32 s21, s91, 0                                     // 00000000C818: 8215805B
	v_mfma_f32_16x16x32_fp8_fp8 v[8:11], a[32:33], a[0:1], 0   // 00000000C81C: D3F30008 1A020120
	s_add_u32 s24, s92, s71                                    // 00000000C824: 8018475C
	s_addc_u32 s25, s93, 0                                     // 00000000C828: 8219805D
	v_mfma_f32_16x16x32_fp8_fp8 v[8:11], a[34:35], a[2:3], v[8:11]// 00000000C82C: D3F30008 1C220522
	s_add_u32 s69, s69, 0x1000                                 // 00000000C834: 8045FF45 00001000
	s_add_u32 s70, s70, 0x8000                                 // 00000000C83C: 8046FF46 00008000
	v_mfma_f32_16x16x32_fp8_fp8 v[8:11], a[36:37], a[4:5], v[8:11]// 00000000C844: D3F30008 1C220924
	buffer_load_dwordx4 a[60:63], v230, s[12:15], 0 offen      // 00000000C84C: E05C1000 80833CE6
	v_mfma_f32_16x16x32_fp8_fp8 v[8:11], a[38:39], a[6:7], v[8:11]// 00000000C854: D3F30008 1C220D26
	s_add_u32 s71, s71, 0x400                                  // 00000000C85C: 8047FF47 00000400
	v_mfma_f32_16x16x32_fp8_fp8 v[12:15], a[40:41], a[0:1], 0  // 00000000C864: D3F3000C 1A020128
	v_mfma_f32_16x16x32_fp8_fp8 v[12:15], a[42:43], a[2:3], v[12:15]// 00000000C86C: D3F3000C 1C32052A
	v_mfma_f32_16x16x32_fp8_fp8 v[12:15], a[44:45], a[4:5], v[12:15]// 00000000C874: D3F3000C 1C32092C
	buffer_load_dwordx4 a[64:67], v229, s[12:15], 0 offen offset:1024// 00000000C87C: E05C1400 808340E5
	v_mfma_f32_16x16x32_fp8_fp8 v[12:15], a[46:47], a[6:7], v[12:15]// 00000000C884: D3F3000C 1C320D2E
	v_mfma_f32_16x16x32_fp8_fp8 v[16:19], a[48:49], a[0:1], 0  // 00000000C88C: D3F30010 1A020130
	v_mfma_f32_16x16x32_fp8_fp8 v[16:19], a[50:51], a[2:3], v[16:19]// 00000000C894: D3F30010 1C420532
	v_mfma_f32_16x16x32_fp8_fp8 v[16:19], a[52:53], a[4:5], v[16:19]// 00000000C89C: D3F30010 1C420934
	buffer_load_dwordx4 a[68:71], v230, s[12:15], 0 offen offset:1024// 00000000C8A4: E05C1400 808344E6
	v_mfma_f32_16x16x32_fp8_fp8 v[16:19], a[54:55], a[6:7], v[16:19]// 00000000C8AC: D3F30010 1C420D36
	v_mfma_f32_16x16x32_fp8_fp8 v[20:23], a[24:25], a[8:9], 0  // 00000000C8B4: D3F30014 1A021118
	v_mfma_f32_16x16x32_fp8_fp8 v[20:23], a[26:27], a[10:11], v[20:23]// 00000000C8BC: D3F30014 1C52151A
	v_mfma_f32_16x16x32_fp8_fp8 v[20:23], a[28:29], a[12:13], v[20:23]// 00000000C8C4: D3F30014 1C52191C
	buffer_load_dwordx4 a[72:75], v229, s[12:15], 0 offen offset:2048// 00000000C8CC: E05C1800 808348E5
	v_mfma_f32_16x16x32_fp8_fp8 v[20:23], a[30:31], a[14:15], v[20:23]// 00000000C8D4: D3F30014 1C521D1E
	v_mfma_f32_16x16x32_fp8_fp8 v[24:27], a[32:33], a[8:9], 0  // 00000000C8DC: D3F30018 1A021120
	v_mfma_f32_16x16x32_fp8_fp8 v[24:27], a[34:35], a[10:11], v[24:27]// 00000000C8E4: D3F30018 1C621522
	v_mfma_f32_16x16x32_fp8_fp8 v[24:27], a[36:37], a[12:13], v[24:27]// 00000000C8EC: D3F30018 1C621924
	buffer_load_dwordx4 a[76:79], v230, s[12:15], 0 offen offset:2048// 00000000C8F4: E05C1800 80834CE6
	v_mfma_f32_16x16x32_fp8_fp8 v[24:27], a[38:39], a[14:15], v[24:27]// 00000000C8FC: D3F30018 1C621D26
	v_mfma_f32_16x16x32_fp8_fp8 v[28:31], a[40:41], a[8:9], 0  // 00000000C904: D3F3001C 1A021128
	v_mfma_f32_16x16x32_fp8_fp8 v[28:31], a[42:43], a[10:11], v[28:31]// 00000000C90C: D3F3001C 1C72152A
	v_mfma_f32_16x16x32_fp8_fp8 v[28:31], a[44:45], a[12:13], v[28:31]// 00000000C914: D3F3001C 1C72192C
	buffer_load_dwordx4 a[80:83], v229, s[12:15], 0 offen offset:3072// 00000000C91C: E05C1C00 808350E5
	v_mfma_f32_16x16x32_fp8_fp8 v[28:31], a[46:47], a[14:15], v[28:31]// 00000000C924: D3F3001C 1C721D2E
	v_mfma_f32_16x16x32_fp8_fp8 v[32:35], a[48:49], a[8:9], 0  // 00000000C92C: D3F30020 1A021130
	v_mfma_f32_16x16x32_fp8_fp8 v[32:35], a[50:51], a[10:11], v[32:35]// 00000000C934: D3F30020 1C821532
	v_mfma_f32_16x16x32_fp8_fp8 v[32:35], a[52:53], a[12:13], v[32:35]// 00000000C93C: D3F30020 1C821934
	buffer_load_dwordx4 a[84:87], v230, s[12:15], 0 offen offset:3072// 00000000C944: E05C1C00 808354E6
	v_mfma_f32_16x16x32_fp8_fp8 v[32:35], a[54:55], a[14:15], v[32:35]// 00000000C94C: D3F30020 1C821D36
	v_mfma_f32_16x16x32_fp8_fp8 v[36:39], a[24:25], a[16:17], 0// 00000000C954: D3F30024 1A022118
	v_mfma_f32_16x16x32_fp8_fp8 v[36:39], a[26:27], a[18:19], v[36:39]// 00000000C95C: D3F30024 1C92251A
	v_mfma_f32_16x16x32_fp8_fp8 v[36:39], a[28:29], a[20:21], v[36:39]// 00000000C964: D3F30024 1C92291C
	v_mfma_f32_16x16x32_fp8_fp8 v[36:39], a[30:31], a[22:23], v[36:39]// 00000000C96C: D3F30024 1C922D1E
	v_mfma_f32_16x16x32_fp8_fp8 v[40:43], a[32:33], a[16:17], 0// 00000000C974: D3F30028 1A022120
	v_mfma_f32_16x16x32_fp8_fp8 v[40:43], a[34:35], a[18:19], v[40:43]// 00000000C97C: D3F30028 1CA22522
	v_mfma_f32_16x16x32_fp8_fp8 v[40:43], a[36:37], a[20:21], v[40:43]// 00000000C984: D3F30028 1CA22924
	v_mfma_f32_16x16x32_fp8_fp8 v[40:43], a[38:39], a[22:23], v[40:43]// 00000000C98C: D3F30028 1CA22D26
	v_mfma_f32_16x16x32_fp8_fp8 v[44:47], a[40:41], a[16:17], 0// 00000000C994: D3F3002C 1A022128
	v_mfma_f32_16x16x32_fp8_fp8 v[44:47], a[42:43], a[18:19], v[44:47]// 00000000C99C: D3F3002C 1CB2252A
	v_mfma_f32_16x16x32_fp8_fp8 v[44:47], a[44:45], a[20:21], v[44:47]// 00000000C9A4: D3F3002C 1CB2292C
	v_mfma_f32_16x16x32_fp8_fp8 v[44:47], a[46:47], a[22:23], v[44:47]// 00000000C9AC: D3F3002C 1CB22D2E
	v_mfma_f32_16x16x32_fp8_fp8 v[48:51], a[48:49], a[16:17], 0// 00000000C9B4: D3F30030 1A022130
	v_mfma_f32_16x16x32_fp8_fp8 v[48:51], a[50:51], a[18:19], v[48:51]// 00000000C9BC: D3F30030 1CC22532
	v_mfma_f32_16x16x32_fp8_fp8 v[48:51], a[52:53], a[20:21], v[48:51]// 00000000C9C4: D3F30030 1CC22934
	v_mfma_f32_16x16x32_fp8_fp8 v[48:51], a[54:55], a[22:23], v[48:51]// 00000000C9CC: D3F30030 1CC22D36
	s_waitcnt vmcnt(16)                                        // 00000000C9D4: BF8C4F70
	v_pk_mul_f32 v[4:5], v[148:149], v[4:5]                    // 00000000C9D8: D3B14004 18020994
	v_pk_mul_f32 v[6:7], v[148:149], v[6:7]                    // 00000000C9E0: D3B14006 18020D94
	v_mul_f32_dpp v4, v154, v4 row_newbcast:0 row_mask:0xf bank_mask:0xf// 00000000C9E8: 0A0808FA FF01509A
	v_mul_f32_dpp v5, v154, v5 row_newbcast:1 row_mask:0xf bank_mask:0xf// 00000000C9F0: 0A0A0AFA FF01519A
	v_mul_f32_dpp v6, v154, v6 row_newbcast:2 row_mask:0xf bank_mask:0xf// 00000000C9F8: 0A0C0CFA FF01529A
	v_mul_f32_dpp v7, v154, v7 row_newbcast:3 row_mask:0xf bank_mask:0xf// 00000000CA00: 0A0E0EFA FF01539A
	v_pk_mul_f32 v[8:9], v[148:149], v[8:9]                    // 00000000CA08: D3B14008 18021194
	v_pk_mul_f32 v[10:11], v[148:149], v[10:11]                // 00000000CA10: D3B1400A 18021594
	v_mul_f32_dpp v8, v154, v8 row_newbcast:4 row_mask:0xf bank_mask:0xf// 00000000CA18: 0A1010FA FF01549A
	v_mul_f32_dpp v9, v154, v9 row_newbcast:5 row_mask:0xf bank_mask:0xf// 00000000CA20: 0A1212FA FF01559A
	v_mul_f32_dpp v10, v154, v10 row_newbcast:6 row_mask:0xf bank_mask:0xf// 00000000CA28: 0A1414FA FF01569A
	v_mul_f32_dpp v11, v154, v11 row_newbcast:7 row_mask:0xf bank_mask:0xf// 00000000CA30: 0A1616FA FF01579A
	v_pk_mul_f32 v[12:13], v[148:149], v[12:13]                // 00000000CA38: D3B1400C 18021994
	v_pk_mul_f32 v[14:15], v[148:149], v[14:15]                // 00000000CA40: D3B1400E 18021D94
	v_mul_f32_dpp v12, v154, v12 row_newbcast:8 row_mask:0xf bank_mask:0xf// 00000000CA48: 0A1818FA FF01589A
	v_mul_f32_dpp v13, v154, v13 row_newbcast:9 row_mask:0xf bank_mask:0xf// 00000000CA50: 0A1A1AFA FF01599A
	v_mul_f32_dpp v14, v154, v14 row_newbcast:10 row_mask:0xf bank_mask:0xf// 00000000CA58: 0A1C1CFA FF015A9A
	v_mul_f32_dpp v15, v154, v15 row_newbcast:11 row_mask:0xf bank_mask:0xf// 00000000CA60: 0A1E1EFA FF015B9A
	v_pk_mul_f32 v[16:17], v[148:149], v[16:17]                // 00000000CA68: D3B14010 18022194
	v_pk_mul_f32 v[18:19], v[148:149], v[18:19]                // 00000000CA70: D3B14012 18022594
	v_mul_f32_dpp v16, v154, v16 row_newbcast:12 row_mask:0xf bank_mask:0xf// 00000000CA78: 0A2020FA FF015C9A
	v_mul_f32_dpp v17, v154, v17 row_newbcast:13 row_mask:0xf bank_mask:0xf// 00000000CA80: 0A2222FA FF015D9A
	v_mul_f32_dpp v18, v154, v18 row_newbcast:14 row_mask:0xf bank_mask:0xf// 00000000CA88: 0A2424FA FF015E9A
	v_mul_f32_dpp v19, v154, v19 row_newbcast:15 row_mask:0xf bank_mask:0xf// 00000000CA90: 0A2626FA FF015F9A
	v_pk_mul_f32 v[20:21], v[150:151], v[20:21]                // 00000000CA98: D3B14014 18022996
	v_pk_mul_f32 v[22:23], v[150:151], v[22:23]                // 00000000CAA0: D3B14016 18022D96
	v_mul_f32_dpp v20, v154, v20 row_newbcast:0 row_mask:0xf bank_mask:0xf// 00000000CAA8: 0A2828FA FF01509A
	v_mul_f32_dpp v21, v154, v21 row_newbcast:1 row_mask:0xf bank_mask:0xf// 00000000CAB0: 0A2A2AFA FF01519A
	v_mul_f32_dpp v22, v154, v22 row_newbcast:2 row_mask:0xf bank_mask:0xf// 00000000CAB8: 0A2C2CFA FF01529A
	v_mul_f32_dpp v23, v154, v23 row_newbcast:3 row_mask:0xf bank_mask:0xf// 00000000CAC0: 0A2E2EFA FF01539A
	v_pk_mul_f32 v[24:25], v[150:151], v[24:25]                // 00000000CAC8: D3B14018 18023196
	v_pk_mul_f32 v[26:27], v[150:151], v[26:27]                // 00000000CAD0: D3B1401A 18023596
	v_mul_f32_dpp v24, v154, v24 row_newbcast:4 row_mask:0xf bank_mask:0xf// 00000000CAD8: 0A3030FA FF01549A
	v_mul_f32_dpp v25, v154, v25 row_newbcast:5 row_mask:0xf bank_mask:0xf// 00000000CAE0: 0A3232FA FF01559A
	v_mul_f32_dpp v26, v154, v26 row_newbcast:6 row_mask:0xf bank_mask:0xf// 00000000CAE8: 0A3434FA FF01569A
	v_mul_f32_dpp v27, v154, v27 row_newbcast:7 row_mask:0xf bank_mask:0xf// 00000000CAF0: 0A3636FA FF01579A
	v_pk_mul_f32 v[28:29], v[150:151], v[28:29]                // 00000000CAF8: D3B1401C 18023996
	v_pk_mul_f32 v[30:31], v[150:151], v[30:31]                // 00000000CB00: D3B1401E 18023D96
	v_mul_f32_dpp v28, v154, v28 row_newbcast:8 row_mask:0xf bank_mask:0xf// 00000000CB08: 0A3838FA FF01589A
	v_mul_f32_dpp v29, v154, v29 row_newbcast:9 row_mask:0xf bank_mask:0xf// 00000000CB10: 0A3A3AFA FF01599A
	v_mul_f32_dpp v30, v154, v30 row_newbcast:10 row_mask:0xf bank_mask:0xf// 00000000CB18: 0A3C3CFA FF015A9A
	v_mul_f32_dpp v31, v154, v31 row_newbcast:11 row_mask:0xf bank_mask:0xf// 00000000CB20: 0A3E3EFA FF015B9A
	v_pk_mul_f32 v[32:33], v[150:151], v[32:33]                // 00000000CB28: D3B14020 18024196
	v_pk_mul_f32 v[34:35], v[150:151], v[34:35]                // 00000000CB30: D3B14022 18024596
	v_mul_f32_dpp v32, v154, v32 row_newbcast:12 row_mask:0xf bank_mask:0xf// 00000000CB38: 0A4040FA FF015C9A
	v_mul_f32_dpp v33, v154, v33 row_newbcast:13 row_mask:0xf bank_mask:0xf// 00000000CB40: 0A4242FA FF015D9A
	v_mul_f32_dpp v34, v154, v34 row_newbcast:14 row_mask:0xf bank_mask:0xf// 00000000CB48: 0A4444FA FF015E9A
	v_mul_f32_dpp v35, v154, v35 row_newbcast:15 row_mask:0xf bank_mask:0xf// 00000000CB50: 0A4646FA FF015F9A
	v_pk_mul_f32 v[36:37], v[152:153], v[36:37]                // 00000000CB58: D3B14024 18024998
	v_pk_mul_f32 v[38:39], v[152:153], v[38:39]                // 00000000CB60: D3B14026 18024D98
	v_mul_f32_dpp v36, v154, v36 row_newbcast:0 row_mask:0xf bank_mask:0xf// 00000000CB68: 0A4848FA FF01509A
	v_mul_f32_dpp v37, v154, v37 row_newbcast:1 row_mask:0xf bank_mask:0xf// 00000000CB70: 0A4A4AFA FF01519A
	v_mul_f32_dpp v38, v154, v38 row_newbcast:2 row_mask:0xf bank_mask:0xf// 00000000CB78: 0A4C4CFA FF01529A
	v_mul_f32_dpp v39, v154, v39 row_newbcast:3 row_mask:0xf bank_mask:0xf// 00000000CB80: 0A4E4EFA FF01539A
	v_pk_mul_f32 v[40:41], v[152:153], v[40:41]                // 00000000CB88: D3B14028 18025198
	v_pk_mul_f32 v[42:43], v[152:153], v[42:43]                // 00000000CB90: D3B1402A 18025598
	v_mul_f32_dpp v40, v154, v40 row_newbcast:4 row_mask:0xf bank_mask:0xf// 00000000CB98: 0A5050FA FF01549A
	v_mul_f32_dpp v41, v154, v41 row_newbcast:5 row_mask:0xf bank_mask:0xf// 00000000CBA0: 0A5252FA FF01559A
	v_mul_f32_dpp v42, v154, v42 row_newbcast:6 row_mask:0xf bank_mask:0xf// 00000000CBA8: 0A5454FA FF01569A
	v_mul_f32_dpp v43, v154, v43 row_newbcast:7 row_mask:0xf bank_mask:0xf// 00000000CBB0: 0A5656FA FF01579A
	v_pk_mul_f32 v[44:45], v[152:153], v[44:45]                // 00000000CBB8: D3B1402C 18025998
	v_pk_mul_f32 v[46:47], v[152:153], v[46:47]                // 00000000CBC0: D3B1402E 18025D98
	v_mul_f32_dpp v44, v154, v44 row_newbcast:8 row_mask:0xf bank_mask:0xf// 00000000CBC8: 0A5858FA FF01589A
	v_mul_f32_dpp v45, v154, v45 row_newbcast:9 row_mask:0xf bank_mask:0xf// 00000000CBD0: 0A5A5AFA FF01599A
	v_mul_f32_dpp v46, v154, v46 row_newbcast:10 row_mask:0xf bank_mask:0xf// 00000000CBD8: 0A5C5CFA FF015A9A
	v_mul_f32_dpp v47, v154, v47 row_newbcast:11 row_mask:0xf bank_mask:0xf// 00000000CBE0: 0A5E5EFA FF015B9A
	v_pk_mul_f32 v[48:49], v[152:153], v[48:49]                // 00000000CBE8: D3B14030 18026198
	v_pk_mul_f32 v[50:51], v[152:153], v[50:51]                // 00000000CBF0: D3B14032 18026598
	v_mul_f32_dpp v48, v154, v48 row_newbcast:12 row_mask:0xf bank_mask:0xf// 00000000CBF8: 0A6060FA FF015C9A
	v_mul_f32_dpp v49, v154, v49 row_newbcast:13 row_mask:0xf bank_mask:0xf// 00000000CC00: 0A6262FA FF015D9A
	v_mul_f32_dpp v50, v154, v50 row_newbcast:14 row_mask:0xf bank_mask:0xf// 00000000CC08: 0A6464FA FF015E9A
	v_mul_f32_dpp v51, v154, v51 row_newbcast:15 row_mask:0xf bank_mask:0xf// 00000000CC10: 0A6666FA FF015F9A
	v_add_u32_e32 v204, s64, v221                              // 00000000CC18: 6999BA40
	v_add_u32_e32 v205, 0, v204                                // 00000000CC1C: 699B9880
	v_cmp_lt_u32_e64 s[98:99], v205, v218                      // 00000000CC20: D0C90062 0003B5CD
	s_nop 0                                                    // 00000000CC28: BF800000
	v_cndmask_b32_e64 v4, v222, v4, s[98:99]                   // 00000000CC2C: D1000004 018A09DE
	v_add_u32_e32 v205, 1, v204                                // 00000000CC34: 699B9881
	v_cmp_lt_u32_e64 s[98:99], v205, v218                      // 00000000CC38: D0C90062 0003B5CD
	s_nop 0                                                    // 00000000CC40: BF800000
	v_cndmask_b32_e64 v5, v222, v5, s[98:99]                   // 00000000CC44: D1000005 018A0BDE
	v_add_u32_e32 v205, 2, v204                                // 00000000CC4C: 699B9882
	v_cmp_lt_u32_e64 s[98:99], v205, v218                      // 00000000CC50: D0C90062 0003B5CD
	s_nop 0                                                    // 00000000CC58: BF800000
	v_cndmask_b32_e64 v6, v222, v6, s[98:99]                   // 00000000CC5C: D1000006 018A0DDE
	v_add_u32_e32 v205, 3, v204                                // 00000000CC64: 699B9883
	v_cmp_lt_u32_e64 s[98:99], v205, v218                      // 00000000CC68: D0C90062 0003B5CD
	s_nop 0                                                    // 00000000CC70: BF800000
	v_cndmask_b32_e64 v7, v222, v7, s[98:99]                   // 00000000CC74: D1000007 018A0FDE
	v_add_u32_e32 v205, 64, v204                               // 00000000CC7C: 699B98C0
	v_cmp_lt_u32_e64 s[98:99], v205, v218                      // 00000000CC80: D0C90062 0003B5CD
	s_nop 0                                                    // 00000000CC88: BF800000
	v_cndmask_b32_e64 v8, v222, v8, s[98:99]                   // 00000000CC8C: D1000008 018A11DE
	v_add_u32_e32 v205, 0x41, v204                             // 00000000CC94: 699B98FF 00000041
	v_cmp_lt_u32_e64 s[98:99], v205, v218                      // 00000000CC9C: D0C90062 0003B5CD
	s_nop 0                                                    // 00000000CCA4: BF800000
	v_cndmask_b32_e64 v9, v222, v9, s[98:99]                   // 00000000CCA8: D1000009 018A13DE
	v_add_u32_e32 v205, 0x42, v204                             // 00000000CCB0: 699B98FF 00000042
	v_cmp_lt_u32_e64 s[98:99], v205, v218                      // 00000000CCB8: D0C90062 0003B5CD
	s_nop 0                                                    // 00000000CCC0: BF800000
	v_cndmask_b32_e64 v10, v222, v10, s[98:99]                 // 00000000CCC4: D100000A 018A15DE
	v_add_u32_e32 v205, 0x43, v204                             // 00000000CCCC: 699B98FF 00000043
	v_cmp_lt_u32_e64 s[98:99], v205, v218                      // 00000000CCD4: D0C90062 0003B5CD
	s_nop 0                                                    // 00000000CCDC: BF800000
	v_cndmask_b32_e64 v11, v222, v11, s[98:99]                 // 00000000CCE0: D100000B 018A17DE
	v_add_u32_e32 v205, 0x80, v204                             // 00000000CCE8: 699B98FF 00000080
	v_cmp_lt_u32_e64 s[98:99], v205, v218                      // 00000000CCF0: D0C90062 0003B5CD
	s_nop 0                                                    // 00000000CCF8: BF800000
	v_cndmask_b32_e64 v12, v222, v12, s[98:99]                 // 00000000CCFC: D100000C 018A19DE
	v_add_u32_e32 v205, 0x81, v204                             // 00000000CD04: 699B98FF 00000081
	v_cmp_lt_u32_e64 s[98:99], v205, v218                      // 00000000CD0C: D0C90062 0003B5CD
	s_nop 0                                                    // 00000000CD14: BF800000
	v_cndmask_b32_e64 v13, v222, v13, s[98:99]                 // 00000000CD18: D100000D 018A1BDE
	v_add_u32_e32 v205, 0x82, v204                             // 00000000CD20: 699B98FF 00000082
	v_cmp_lt_u32_e64 s[98:99], v205, v218                      // 00000000CD28: D0C90062 0003B5CD
	s_nop 0                                                    // 00000000CD30: BF800000
	v_cndmask_b32_e64 v14, v222, v14, s[98:99]                 // 00000000CD34: D100000E 018A1DDE
	v_add_u32_e32 v205, 0x83, v204                             // 00000000CD3C: 699B98FF 00000083
	v_cmp_lt_u32_e64 s[98:99], v205, v218                      // 00000000CD44: D0C90062 0003B5CD
	s_nop 0                                                    // 00000000CD4C: BF800000
	v_cndmask_b32_e64 v15, v222, v15, s[98:99]                 // 00000000CD50: D100000F 018A1FDE
	v_add_u32_e32 v205, 0xc0, v204                             // 00000000CD58: 699B98FF 000000C0
	v_cmp_lt_u32_e64 s[98:99], v205, v218                      // 00000000CD60: D0C90062 0003B5CD
	s_nop 0                                                    // 00000000CD68: BF800000
	v_cndmask_b32_e64 v16, v222, v16, s[98:99]                 // 00000000CD6C: D1000010 018A21DE
	v_add_u32_e32 v205, 0xc1, v204                             // 00000000CD74: 699B98FF 000000C1
	v_cmp_lt_u32_e64 s[98:99], v205, v218                      // 00000000CD7C: D0C90062 0003B5CD
	s_nop 0                                                    // 00000000CD84: BF800000
	v_cndmask_b32_e64 v17, v222, v17, s[98:99]                 // 00000000CD88: D1000011 018A23DE
	v_add_u32_e32 v205, 0xc2, v204                             // 00000000CD90: 699B98FF 000000C2
	v_cmp_lt_u32_e64 s[98:99], v205, v218                      // 00000000CD98: D0C90062 0003B5CD
	s_nop 0                                                    // 00000000CDA0: BF800000
	v_cndmask_b32_e64 v18, v222, v18, s[98:99]                 // 00000000CDA4: D1000012 018A25DE
	v_add_u32_e32 v205, 0xc3, v204                             // 00000000CDAC: 699B98FF 000000C3
	v_cmp_lt_u32_e64 s[98:99], v205, v218                      // 00000000CDB4: D0C90062 0003B5CD
	s_nop 0                                                    // 00000000CDBC: BF800000
	v_cndmask_b32_e64 v19, v222, v19, s[98:99]                 // 00000000CDC0: D1000013 018A27DE
	v_add_u32_e32 v205, 0, v204                                // 00000000CDC8: 699B9880
	v_cmp_lt_u32_e64 s[98:99], v205, v219                      // 00000000CDCC: D0C90062 0003B7CD
	s_nop 0                                                    // 00000000CDD4: BF800000
	v_cndmask_b32_e64 v20, v222, v20, s[98:99]                 // 00000000CDD8: D1000014 018A29DE
	v_add_u32_e32 v205, 1, v204                                // 00000000CDE0: 699B9881
	v_cmp_lt_u32_e64 s[98:99], v205, v219                      // 00000000CDE4: D0C90062 0003B7CD
	s_nop 0                                                    // 00000000CDEC: BF800000
	v_cndmask_b32_e64 v21, v222, v21, s[98:99]                 // 00000000CDF0: D1000015 018A2BDE
	v_add_u32_e32 v205, 2, v204                                // 00000000CDF8: 699B9882
	v_cmp_lt_u32_e64 s[98:99], v205, v219                      // 00000000CDFC: D0C90062 0003B7CD
	s_nop 0                                                    // 00000000CE04: BF800000
	v_cndmask_b32_e64 v22, v222, v22, s[98:99]                 // 00000000CE08: D1000016 018A2DDE
	v_add_u32_e32 v205, 3, v204                                // 00000000CE10: 699B9883
	v_cmp_lt_u32_e64 s[98:99], v205, v219                      // 00000000CE14: D0C90062 0003B7CD
	s_nop 0                                                    // 00000000CE1C: BF800000
	v_cndmask_b32_e64 v23, v222, v23, s[98:99]                 // 00000000CE20: D1000017 018A2FDE
	v_add_u32_e32 v205, 64, v204                               // 00000000CE28: 699B98C0
	v_cmp_lt_u32_e64 s[98:99], v205, v219                      // 00000000CE2C: D0C90062 0003B7CD
	s_nop 0                                                    // 00000000CE34: BF800000
	v_cndmask_b32_e64 v24, v222, v24, s[98:99]                 // 00000000CE38: D1000018 018A31DE
	v_add_u32_e32 v205, 0x41, v204                             // 00000000CE40: 699B98FF 00000041
	v_cmp_lt_u32_e64 s[98:99], v205, v219                      // 00000000CE48: D0C90062 0003B7CD
	s_nop 0                                                    // 00000000CE50: BF800000
	v_cndmask_b32_e64 v25, v222, v25, s[98:99]                 // 00000000CE54: D1000019 018A33DE
	v_add_u32_e32 v205, 0x42, v204                             // 00000000CE5C: 699B98FF 00000042
	v_cmp_lt_u32_e64 s[98:99], v205, v219                      // 00000000CE64: D0C90062 0003B7CD
	s_nop 0                                                    // 00000000CE6C: BF800000
	v_cndmask_b32_e64 v26, v222, v26, s[98:99]                 // 00000000CE70: D100001A 018A35DE
	v_add_u32_e32 v205, 0x43, v204                             // 00000000CE78: 699B98FF 00000043
	v_cmp_lt_u32_e64 s[98:99], v205, v219                      // 00000000CE80: D0C90062 0003B7CD
	s_nop 0                                                    // 00000000CE88: BF800000
	v_cndmask_b32_e64 v27, v222, v27, s[98:99]                 // 00000000CE8C: D100001B 018A37DE
	v_add_u32_e32 v205, 0x80, v204                             // 00000000CE94: 699B98FF 00000080
	v_cmp_lt_u32_e64 s[98:99], v205, v219                      // 00000000CE9C: D0C90062 0003B7CD
	s_nop 0                                                    // 00000000CEA4: BF800000
	v_cndmask_b32_e64 v28, v222, v28, s[98:99]                 // 00000000CEA8: D100001C 018A39DE
	v_add_u32_e32 v205, 0x81, v204                             // 00000000CEB0: 699B98FF 00000081
	v_cmp_lt_u32_e64 s[98:99], v205, v219                      // 00000000CEB8: D0C90062 0003B7CD
	s_nop 0                                                    // 00000000CEC0: BF800000
	v_cndmask_b32_e64 v29, v222, v29, s[98:99]                 // 00000000CEC4: D100001D 018A3BDE
	v_add_u32_e32 v205, 0x82, v204                             // 00000000CECC: 699B98FF 00000082
	v_cmp_lt_u32_e64 s[98:99], v205, v219                      // 00000000CED4: D0C90062 0003B7CD
	s_nop 0                                                    // 00000000CEDC: BF800000
	v_cndmask_b32_e64 v30, v222, v30, s[98:99]                 // 00000000CEE0: D100001E 018A3DDE
	v_add_u32_e32 v205, 0x83, v204                             // 00000000CEE8: 699B98FF 00000083
	v_cmp_lt_u32_e64 s[98:99], v205, v219                      // 00000000CEF0: D0C90062 0003B7CD
	s_nop 0                                                    // 00000000CEF8: BF800000
	v_cndmask_b32_e64 v31, v222, v31, s[98:99]                 // 00000000CEFC: D100001F 018A3FDE
	v_add_u32_e32 v205, 0xc0, v204                             // 00000000CF04: 699B98FF 000000C0
	v_cmp_lt_u32_e64 s[98:99], v205, v219                      // 00000000CF0C: D0C90062 0003B7CD
	s_nop 0                                                    // 00000000CF14: BF800000
	v_cndmask_b32_e64 v32, v222, v32, s[98:99]                 // 00000000CF18: D1000020 018A41DE
	v_add_u32_e32 v205, 0xc1, v204                             // 00000000CF20: 699B98FF 000000C1
	v_cmp_lt_u32_e64 s[98:99], v205, v219                      // 00000000CF28: D0C90062 0003B7CD
	s_nop 0                                                    // 00000000CF30: BF800000
	v_cndmask_b32_e64 v33, v222, v33, s[98:99]                 // 00000000CF34: D1000021 018A43DE
	v_add_u32_e32 v205, 0xc2, v204                             // 00000000CF3C: 699B98FF 000000C2
	v_cmp_lt_u32_e64 s[98:99], v205, v219                      // 00000000CF44: D0C90062 0003B7CD
	s_nop 0                                                    // 00000000CF4C: BF800000
	v_cndmask_b32_e64 v34, v222, v34, s[98:99]                 // 00000000CF50: D1000022 018A45DE
	v_add_u32_e32 v205, 0xc3, v204                             // 00000000CF58: 699B98FF 000000C3
	v_cmp_lt_u32_e64 s[98:99], v205, v219                      // 00000000CF60: D0C90062 0003B7CD
	s_nop 0                                                    // 00000000CF68: BF800000
	v_cndmask_b32_e64 v35, v222, v35, s[98:99]                 // 00000000CF6C: D1000023 018A47DE
	v_add_u32_e32 v205, 0, v204                                // 00000000CF74: 699B9880
	v_cmp_lt_u32_e64 s[98:99], v205, v220                      // 00000000CF78: D0C90062 0003B9CD
	s_nop 0                                                    // 00000000CF80: BF800000
	v_cndmask_b32_e64 v36, v222, v36, s[98:99]                 // 00000000CF84: D1000024 018A49DE
	v_add_u32_e32 v205, 1, v204                                // 00000000CF8C: 699B9881
	v_cmp_lt_u32_e64 s[98:99], v205, v220                      // 00000000CF90: D0C90062 0003B9CD
	s_nop 0                                                    // 00000000CF98: BF800000
	v_cndmask_b32_e64 v37, v222, v37, s[98:99]                 // 00000000CF9C: D1000025 018A4BDE
	v_add_u32_e32 v205, 2, v204                                // 00000000CFA4: 699B9882
	v_cmp_lt_u32_e64 s[98:99], v205, v220                      // 00000000CFA8: D0C90062 0003B9CD
	s_nop 0                                                    // 00000000CFB0: BF800000
	v_cndmask_b32_e64 v38, v222, v38, s[98:99]                 // 00000000CFB4: D1000026 018A4DDE
	v_add_u32_e32 v205, 3, v204                                // 00000000CFBC: 699B9883
	v_cmp_lt_u32_e64 s[98:99], v205, v220                      // 00000000CFC0: D0C90062 0003B9CD
	s_nop 0                                                    // 00000000CFC8: BF800000
	v_cndmask_b32_e64 v39, v222, v39, s[98:99]                 // 00000000CFCC: D1000027 018A4FDE
	v_add_u32_e32 v205, 64, v204                               // 00000000CFD4: 699B98C0
	v_cmp_lt_u32_e64 s[98:99], v205, v220                      // 00000000CFD8: D0C90062 0003B9CD
	s_nop 0                                                    // 00000000CFE0: BF800000
	v_cndmask_b32_e64 v40, v222, v40, s[98:99]                 // 00000000CFE4: D1000028 018A51DE
	v_add_u32_e32 v205, 0x41, v204                             // 00000000CFEC: 699B98FF 00000041
	v_cmp_lt_u32_e64 s[98:99], v205, v220                      // 00000000CFF4: D0C90062 0003B9CD
	s_nop 0                                                    // 00000000CFFC: BF800000
	v_cndmask_b32_e64 v41, v222, v41, s[98:99]                 // 00000000D000: D1000029 018A53DE
	v_add_u32_e32 v205, 0x42, v204                             // 00000000D008: 699B98FF 00000042
	v_cmp_lt_u32_e64 s[98:99], v205, v220                      // 00000000D010: D0C90062 0003B9CD
	s_nop 0                                                    // 00000000D018: BF800000
	v_cndmask_b32_e64 v42, v222, v42, s[98:99]                 // 00000000D01C: D100002A 018A55DE
	v_add_u32_e32 v205, 0x43, v204                             // 00000000D024: 699B98FF 00000043
	v_cmp_lt_u32_e64 s[98:99], v205, v220                      // 00000000D02C: D0C90062 0003B9CD
	s_nop 0                                                    // 00000000D034: BF800000
	v_cndmask_b32_e64 v43, v222, v43, s[98:99]                 // 00000000D038: D100002B 018A57DE
	v_add_u32_e32 v205, 0x80, v204                             // 00000000D040: 699B98FF 00000080
	v_cmp_lt_u32_e64 s[98:99], v205, v220                      // 00000000D048: D0C90062 0003B9CD
	s_nop 0                                                    // 00000000D050: BF800000
	v_cndmask_b32_e64 v44, v222, v44, s[98:99]                 // 00000000D054: D100002C 018A59DE
	v_add_u32_e32 v205, 0x81, v204                             // 00000000D05C: 699B98FF 00000081
	v_cmp_lt_u32_e64 s[98:99], v205, v220                      // 00000000D064: D0C90062 0003B9CD
	s_nop 0                                                    // 00000000D06C: BF800000
	v_cndmask_b32_e64 v45, v222, v45, s[98:99]                 // 00000000D070: D100002D 018A5BDE
	v_add_u32_e32 v205, 0x82, v204                             // 00000000D078: 699B98FF 00000082
	v_cmp_lt_u32_e64 s[98:99], v205, v220                      // 00000000D080: D0C90062 0003B9CD
	s_nop 0                                                    // 00000000D088: BF800000
	v_cndmask_b32_e64 v46, v222, v46, s[98:99]                 // 00000000D08C: D100002E 018A5DDE
	v_add_u32_e32 v205, 0x83, v204                             // 00000000D094: 699B98FF 00000083
	v_cmp_lt_u32_e64 s[98:99], v205, v220                      // 00000000D09C: D0C90062 0003B9CD
	s_nop 0                                                    // 00000000D0A4: BF800000
	v_cndmask_b32_e64 v47, v222, v47, s[98:99]                 // 00000000D0A8: D100002F 018A5FDE
	v_add_u32_e32 v205, 0xc0, v204                             // 00000000D0B0: 699B98FF 000000C0
	v_cmp_lt_u32_e64 s[98:99], v205, v220                      // 00000000D0B8: D0C90062 0003B9CD
	s_nop 0                                                    // 00000000D0C0: BF800000
	v_cndmask_b32_e64 v48, v222, v48, s[98:99]                 // 00000000D0C4: D1000030 018A61DE
	v_add_u32_e32 v205, 0xc1, v204                             // 00000000D0CC: 699B98FF 000000C1
	v_cmp_lt_u32_e64 s[98:99], v205, v220                      // 00000000D0D4: D0C90062 0003B9CD
	s_nop 0                                                    // 00000000D0DC: BF800000
	v_cndmask_b32_e64 v49, v222, v49, s[98:99]                 // 00000000D0E0: D1000031 018A63DE
	v_add_u32_e32 v205, 0xc2, v204                             // 00000000D0E8: 699B98FF 000000C2
	v_cmp_lt_u32_e64 s[98:99], v205, v220                      // 00000000D0F0: D0C90062 0003B9CD
	s_nop 0                                                    // 00000000D0F8: BF800000
	v_cndmask_b32_e64 v50, v222, v50, s[98:99]                 // 00000000D0FC: D1000032 018A65DE
	v_add_u32_e32 v205, 0xc3, v204                             // 00000000D104: 699B98FF 000000C3
	v_cmp_lt_u32_e64 s[98:99], v205, v220                      // 00000000D10C: D0C90062 0003B9CD
	s_nop 0                                                    // 00000000D114: BF800000
	v_cndmask_b32_e64 v51, v222, v51, s[98:99]                 // 00000000D118: D1000033 018A67DE
	v_mov_b32_e32 v182, v4                                     // 00000000D120: 7F6C0304
	v_max3_f32 v182, v4, v5, v182                              // 00000000D124: D1D300B6 06DA0B04
	v_max3_f32 v182, v6, v7, v182                              // 00000000D12C: D1D300B6 06DA0F06
	v_max3_f32 v182, v8, v9, v182                              // 00000000D134: D1D300B6 06DA1308
	v_max3_f32 v182, v10, v11, v182                            // 00000000D13C: D1D300B6 06DA170A
	v_max3_f32 v182, v12, v13, v182                            // 00000000D144: D1D300B6 06DA1B0C
	v_max3_f32 v182, v14, v15, v182                            // 00000000D14C: D1D300B6 06DA1F0E
	v_max3_f32 v182, v16, v17, v182                            // 00000000D154: D1D300B6 06DA2310
	v_max3_f32 v182, v18, v19, v182                            // 00000000D15C: D1D300B6 06DA2712
	v_mov_b32_e32 v183, v20                                    // 00000000D164: 7F6E0314
	v_max3_f32 v183, v20, v21, v183                            // 00000000D168: D1D300B7 06DE2B14
	v_max3_f32 v183, v22, v23, v183                            // 00000000D170: D1D300B7 06DE2F16
	v_max3_f32 v183, v24, v25, v183                            // 00000000D178: D1D300B7 06DE3318
	v_max3_f32 v183, v26, v27, v183                            // 00000000D180: D1D300B7 06DE371A
	v_max3_f32 v183, v28, v29, v183                            // 00000000D188: D1D300B7 06DE3B1C
	v_max3_f32 v183, v30, v31, v183                            // 00000000D190: D1D300B7 06DE3F1E
	v_max3_f32 v183, v32, v33, v183                            // 00000000D198: D1D300B7 06DE4320
	v_max3_f32 v183, v34, v35, v183                            // 00000000D1A0: D1D300B7 06DE4722
	v_mov_b32_e32 v184, v36                                    // 00000000D1A8: 7F700324
	v_max3_f32 v184, v36, v37, v184                            // 00000000D1AC: D1D300B8 06E24B24
	v_max3_f32 v184, v38, v39, v184                            // 00000000D1B4: D1D300B8 06E24F26
	v_max3_f32 v184, v40, v41, v184                            // 00000000D1BC: D1D300B8 06E25328
	v_max3_f32 v184, v42, v43, v184                            // 00000000D1C4: D1D300B8 06E2572A
	v_max3_f32 v184, v44, v45, v184                            // 00000000D1CC: D1D300B8 06E25B2C
	v_max3_f32 v184, v46, v47, v184                            // 00000000D1D4: D1D300B8 06E25F2E
	v_max3_f32 v184, v48, v49, v184                            // 00000000D1DC: D1D300B8 06E26330
	v_max3_f32 v184, v50, v51, v184                            // 00000000D1E4: D1D300B8 06E26732
	ds_bpermute_b32 v188, v208, v182                           // 00000000D1EC: D87E0000 BC00B6D0
	ds_bpermute_b32 v189, v209, v182                           // 00000000D1F4: D87E0000 BD00B6D1
	ds_bpermute_b32 v190, v210, v182                           // 00000000D1FC: D87E0000 BE00B6D2
	ds_bpermute_b32 v191, v208, v183                           // 00000000D204: D87E0000 BF00B7D0
	ds_bpermute_b32 v192, v209, v183                           // 00000000D20C: D87E0000 C000B7D1
	ds_bpermute_b32 v193, v210, v183                           // 00000000D214: D87E0000 C100B7D2
	ds_bpermute_b32 v194, v208, v184                           // 00000000D21C: D87E0000 C200B8D0
	ds_bpermute_b32 v195, v209, v184                           // 00000000D224: D87E0000 C300B8D1
	ds_bpermute_b32 v196, v210, v184                           // 00000000D22C: D87E0000 C400B8D2
	v_pk_mul_f32 v[124:125], v[170:171], v[124:125]            // 00000000D234: D3B1407C 1802F9AA
	v_pk_mul_f32 v[126:127], v[170:171], v[126:127]            // 00000000D23C: D3B1407E 1802FDAA
	v_pk_mul_f32 v[128:129], v[170:171], v[128:129]            // 00000000D244: D3B14080 180301AA
	v_pk_mul_f32 v[130:131], v[170:171], v[130:131]            // 00000000D24C: D3B14082 180305AA
	v_pk_mul_f32 v[132:133], v[172:173], v[132:133]            // 00000000D254: D3B14084 180309AC
	v_pk_mul_f32 v[134:135], v[172:173], v[134:135]            // 00000000D25C: D3B14086 18030DAC
	v_pk_mul_f32 v[136:137], v[172:173], v[136:137]            // 00000000D264: D3B14088 180311AC
	v_pk_mul_f32 v[138:139], v[172:173], v[138:139]            // 00000000D26C: D3B1408A 180315AC
	v_pk_mul_f32 v[140:141], v[174:175], v[140:141]            // 00000000D274: D3B1408C 180319AE
	v_pk_mul_f32 v[142:143], v[174:175], v[142:143]            // 00000000D27C: D3B1408E 18031DAE
	v_pk_mul_f32 v[144:145], v[174:175], v[144:145]            // 00000000D284: D3B14090 180321AE
	v_pk_mul_f32 v[146:147], v[174:175], v[146:147]            // 00000000D28C: D3B14092 180325AE
	s_waitcnt lgkmcnt(6)                                       // 00000000D294: BF8CC67F
	v_max3_f32 v182, v188, v189, v182                          // 00000000D298: D1D300B6 06DB7BBC
	v_max_f32_e32 v182, v190, v182                             // 00000000D2A0: 176D6DBE
	s_waitcnt lgkmcnt(3)                                       // 00000000D2A4: BF8CC37F
	v_max3_f32 v183, v191, v192, v183                          // 00000000D2A8: D1D300B7 06DF81BF
	v_max_f32_e32 v183, v193, v183                             // 00000000D2B0: 176F6FC1
	s_waitcnt lgkmcnt(0)                                       // 00000000D2B4: BF8CC07F
	v_max3_f32 v184, v194, v195, v184                          // 00000000D2B8: D1D300B8 06E387C2
	v_max_f32_e32 v184, v196, v184                             // 00000000D2C0: 177171C4
	ds_write_b128 v249, v[182:185]                             // 00000000D2C4: D9BE0000 0000B6F9
	s_waitcnt lgkmcnt(0)                                       // 00000000D2CC: BF8CC07F
	s_barrier                                                  // 00000000D2D0: BF8A0000
	ds_read_b128 v[188:191], v250                              // 00000000D2D4: D9FE0000 BC0000FA
	ds_read_b128 v[192:195], v250 offset:256                   // 00000000D2DC: D9FE0100 C00000FA
	ds_read_b128 v[196:199], v250 offset:512                   // 00000000D2E4: D9FE0200 C40000FA
	ds_read_b128 v[200:203], v250 offset:768                   // 00000000D2EC: D9FE0300 C80000FA
	v_pk_mul_f32 v[100:101], v[158:159], v[100:101]            // 00000000D2F4: D3B14064 1802C99E
	v_pk_mul_f32 v[102:103], v[158:159], v[102:103]            // 00000000D2FC: D3B14066 1802CD9E
	v_pk_mul_f32 v[104:105], v[158:159], v[104:105]            // 00000000D304: D3B14068 1802D19E
	v_pk_mul_f32 v[106:107], v[158:159], v[106:107]            // 00000000D30C: D3B1406A 1802D59E
	v_pk_mul_f32 v[108:109], v[160:161], v[108:109]            // 00000000D314: D3B1406C 1802D9A0
	v_pk_mul_f32 v[110:111], v[160:161], v[110:111]            // 00000000D31C: D3B1406E 1802DDA0
	v_pk_mul_f32 v[112:113], v[160:161], v[112:113]            // 00000000D324: D3B14070 1802E1A0
	v_pk_mul_f32 v[114:115], v[160:161], v[114:115]            // 00000000D32C: D3B14072 1802E5A0
	v_pk_mul_f32 v[116:117], v[162:163], v[116:117]            // 00000000D334: D3B14074 1802E9A2
	v_pk_mul_f32 v[118:119], v[162:163], v[118:119]            // 00000000D33C: D3B14076 1802EDA2
	v_pk_mul_f32 v[120:121], v[162:163], v[120:121]            // 00000000D344: D3B14078 1802F1A2
	v_pk_mul_f32 v[122:123], v[162:163], v[122:123]            // 00000000D34C: D3B1407A 1802F5A2
	s_waitcnt lgkmcnt(0)                                       // 00000000D354: BF8CC07F
	v_max3_f32 v182, v188, v192, v182                          // 00000000D358: D1D300B6 06DB81BC
	v_max3_f32 v183, v189, v193, v183                          // 00000000D360: D1D300B7 06DF83BD
	v_max3_f32 v184, v190, v194, v184                          // 00000000D368: D1D300B8 06E385BE
	v_max3_f32 v182, v196, v200, v182                          // 00000000D370: D1D300B6 06DB91C4
	v_max3_f32 v183, v197, v201, v183                          // 00000000D378: D1D300B7 06DF93C5
	v_max3_f32 v184, v198, v202, v184                          // 00000000D380: D1D300B8 06E395C6
	v_max_f32_e32 v167, v182, v164                             // 00000000D388: 174F49B6
	v_mul_f32_e64 v204, -s46, v167                             // 00000000D38C: D10500CC 20034E2E
	v_mov_b32_e32 v205, v204                                   // 00000000D394: 7F9A03CC
	v_pk_fma_f32 v[4:5], v[4:5], s[46:47], v[204:205]          // 00000000D398: D3B04004 1F305D04
	v_pk_fma_f32 v[6:7], v[6:7], s[46:47], v[204:205]          // 00000000D3A0: D3B04006 1F305D06
	v_exp_f32_e32 v4, v4                                       // 00000000D3A8: 7E084104
	v_exp_f32_e32 v5, v5                                       // 00000000D3AC: 7E0A4105
	v_exp_f32_e32 v6, v6                                       // 00000000D3B0: 7E0C4106
	v_exp_f32_e32 v7, v7                                       // 00000000D3B4: 7E0E4107
	v_pk_fma_f32 v[8:9], v[8:9], s[46:47], v[204:205]          // 00000000D3B8: D3B04008 1F305D08
	v_pk_fma_f32 v[10:11], v[10:11], s[46:47], v[204:205]      // 00000000D3C0: D3B0400A 1F305D0A
	v_exp_f32_e32 v8, v8                                       // 00000000D3C8: 7E104108
	v_exp_f32_e32 v9, v9                                       // 00000000D3CC: 7E124109
	v_exp_f32_e32 v10, v10                                     // 00000000D3D0: 7E14410A
	v_exp_f32_e32 v11, v11                                     // 00000000D3D4: 7E16410B
	v_pk_fma_f32 v[12:13], v[12:13], s[46:47], v[204:205]      // 00000000D3D8: D3B0400C 1F305D0C
	v_pk_fma_f32 v[14:15], v[14:15], s[46:47], v[204:205]      // 00000000D3E0: D3B0400E 1F305D0E
	v_exp_f32_e32 v12, v12                                     // 00000000D3E8: 7E18410C
	v_exp_f32_e32 v13, v13                                     // 00000000D3EC: 7E1A410D
	v_exp_f32_e32 v14, v14                                     // 00000000D3F0: 7E1C410E
	v_exp_f32_e32 v15, v15                                     // 00000000D3F4: 7E1E410F
	v_pk_fma_f32 v[16:17], v[16:17], s[46:47], v[204:205]      // 00000000D3F8: D3B04010 1F305D10
	v_pk_fma_f32 v[18:19], v[18:19], s[46:47], v[204:205]      // 00000000D400: D3B04012 1F305D12
	v_exp_f32_e32 v16, v16                                     // 00000000D408: 7E204110
	v_exp_f32_e32 v17, v17                                     // 00000000D40C: 7E224111
	v_exp_f32_e32 v18, v18                                     // 00000000D410: 7E244112
	v_exp_f32_e32 v19, v19                                     // 00000000D414: 7E264113
	v_max_f32_e32 v168, v183, v165                             // 00000000D418: 17514BB7
	v_mul_f32_e64 v204, -s46, v168                             // 00000000D41C: D10500CC 2003502E
	v_mov_b32_e32 v205, v204                                   // 00000000D424: 7F9A03CC
	v_pk_fma_f32 v[20:21], v[20:21], s[46:47], v[204:205]      // 00000000D428: D3B04014 1F305D14
	v_pk_fma_f32 v[22:23], v[22:23], s[46:47], v[204:205]      // 00000000D430: D3B04016 1F305D16
	v_exp_f32_e32 v20, v20                                     // 00000000D438: 7E284114
	v_exp_f32_e32 v21, v21                                     // 00000000D43C: 7E2A4115
	v_exp_f32_e32 v22, v22                                     // 00000000D440: 7E2C4116
	v_exp_f32_e32 v23, v23                                     // 00000000D444: 7E2E4117
	v_pk_fma_f32 v[24:25], v[24:25], s[46:47], v[204:205]      // 00000000D448: D3B04018 1F305D18
	v_pk_fma_f32 v[26:27], v[26:27], s[46:47], v[204:205]      // 00000000D450: D3B0401A 1F305D1A
	v_exp_f32_e32 v24, v24                                     // 00000000D458: 7E304118
	v_exp_f32_e32 v25, v25                                     // 00000000D45C: 7E324119
	v_exp_f32_e32 v26, v26                                     // 00000000D460: 7E34411A
	v_exp_f32_e32 v27, v27                                     // 00000000D464: 7E36411B
	v_pk_fma_f32 v[28:29], v[28:29], s[46:47], v[204:205]      // 00000000D468: D3B0401C 1F305D1C
	v_pk_fma_f32 v[30:31], v[30:31], s[46:47], v[204:205]      // 00000000D470: D3B0401E 1F305D1E
	v_exp_f32_e32 v28, v28                                     // 00000000D478: 7E38411C
	v_exp_f32_e32 v29, v29                                     // 00000000D47C: 7E3A411D
	v_exp_f32_e32 v30, v30                                     // 00000000D480: 7E3C411E
	v_exp_f32_e32 v31, v31                                     // 00000000D484: 7E3E411F
	v_pk_fma_f32 v[32:33], v[32:33], s[46:47], v[204:205]      // 00000000D488: D3B04020 1F305D20
	v_pk_fma_f32 v[34:35], v[34:35], s[46:47], v[204:205]      // 00000000D490: D3B04022 1F305D22
	v_exp_f32_e32 v32, v32                                     // 00000000D498: 7E404120
	v_exp_f32_e32 v33, v33                                     // 00000000D49C: 7E424121
	v_exp_f32_e32 v34, v34                                     // 00000000D4A0: 7E444122
	v_exp_f32_e32 v35, v35                                     // 00000000D4A4: 7E464123
	v_max_f32_e32 v169, v184, v166                             // 00000000D4A8: 17534DB8
	v_mul_f32_e64 v204, -s46, v169                             // 00000000D4AC: D10500CC 2003522E
	v_mov_b32_e32 v205, v204                                   // 00000000D4B4: 7F9A03CC
	v_pk_fma_f32 v[36:37], v[36:37], s[46:47], v[204:205]      // 00000000D4B8: D3B04024 1F305D24
	v_pk_fma_f32 v[38:39], v[38:39], s[46:47], v[204:205]      // 00000000D4C0: D3B04026 1F305D26
	v_exp_f32_e32 v36, v36                                     // 00000000D4C8: 7E484124
	v_exp_f32_e32 v37, v37                                     // 00000000D4CC: 7E4A4125
	v_exp_f32_e32 v38, v38                                     // 00000000D4D0: 7E4C4126
	v_exp_f32_e32 v39, v39                                     // 00000000D4D4: 7E4E4127
	v_pk_fma_f32 v[40:41], v[40:41], s[46:47], v[204:205]      // 00000000D4D8: D3B04028 1F305D28
	v_pk_fma_f32 v[42:43], v[42:43], s[46:47], v[204:205]      // 00000000D4E0: D3B0402A 1F305D2A
	v_exp_f32_e32 v40, v40                                     // 00000000D4E8: 7E504128
	v_exp_f32_e32 v41, v41                                     // 00000000D4EC: 7E524129
	v_exp_f32_e32 v42, v42                                     // 00000000D4F0: 7E54412A
	v_exp_f32_e32 v43, v43                                     // 00000000D4F4: 7E56412B
	v_pk_fma_f32 v[44:45], v[44:45], s[46:47], v[204:205]      // 00000000D4F8: D3B0402C 1F305D2C
	v_pk_fma_f32 v[46:47], v[46:47], s[46:47], v[204:205]      // 00000000D500: D3B0402E 1F305D2E
	v_exp_f32_e32 v44, v44                                     // 00000000D508: 7E58412C
	v_exp_f32_e32 v45, v45                                     // 00000000D50C: 7E5A412D
	v_exp_f32_e32 v46, v46                                     // 00000000D510: 7E5C412E
	v_exp_f32_e32 v47, v47                                     // 00000000D514: 7E5E412F
	v_pk_fma_f32 v[48:49], v[48:49], s[46:47], v[204:205]      // 00000000D518: D3B04030 1F305D30
	v_pk_fma_f32 v[50:51], v[50:51], s[46:47], v[204:205]      // 00000000D520: D3B04032 1F305D32
	v_exp_f32_e32 v48, v48                                     // 00000000D528: 7E604130
	v_exp_f32_e32 v49, v49                                     // 00000000D52C: 7E624131
	v_exp_f32_e32 v50, v50                                     // 00000000D530: 7E644132
	v_exp_f32_e32 v51, v51                                     // 00000000D534: 7E664133
	v_mul_f32_dpp v52, v156, v4 row_newbcast:0 row_mask:0xf bank_mask:0xf// 00000000D538: 0A6808FA FF01509C
	v_mul_f32_dpp v53, v156, v5 row_newbcast:1 row_mask:0xf bank_mask:0xf// 00000000D540: 0A6A0AFA FF01519C
	v_mul_f32_dpp v54, v156, v6 row_newbcast:2 row_mask:0xf bank_mask:0xf// 00000000D548: 0A6C0CFA FF01529C
	v_mul_f32_dpp v55, v156, v7 row_newbcast:3 row_mask:0xf bank_mask:0xf// 00000000D550: 0A6E0EFA FF01539C
	v_mul_f32_dpp v56, v156, v8 row_newbcast:4 row_mask:0xf bank_mask:0xf// 00000000D558: 0A7010FA FF01549C
	v_mul_f32_dpp v57, v156, v9 row_newbcast:5 row_mask:0xf bank_mask:0xf// 00000000D560: 0A7212FA FF01559C
	v_mul_f32_dpp v58, v156, v10 row_newbcast:6 row_mask:0xf bank_mask:0xf// 00000000D568: 0A7414FA FF01569C
	v_mul_f32_dpp v59, v156, v11 row_newbcast:7 row_mask:0xf bank_mask:0xf// 00000000D570: 0A7616FA FF01579C
	v_mul_f32_dpp v60, v156, v12 row_newbcast:8 row_mask:0xf bank_mask:0xf// 00000000D578: 0A7818FA FF01589C
	v_mul_f32_dpp v61, v156, v13 row_newbcast:9 row_mask:0xf bank_mask:0xf// 00000000D580: 0A7A1AFA FF01599C
	v_mul_f32_dpp v62, v156, v14 row_newbcast:10 row_mask:0xf bank_mask:0xf// 00000000D588: 0A7C1CFA FF015A9C
	v_mul_f32_dpp v63, v156, v15 row_newbcast:11 row_mask:0xf bank_mask:0xf// 00000000D590: 0A7E1EFA FF015B9C
	v_mul_f32_dpp v64, v156, v16 row_newbcast:12 row_mask:0xf bank_mask:0xf// 00000000D598: 0A8020FA FF015C9C
	v_mul_f32_dpp v65, v156, v17 row_newbcast:13 row_mask:0xf bank_mask:0xf// 00000000D5A0: 0A8222FA FF015D9C
	v_mul_f32_dpp v66, v156, v18 row_newbcast:14 row_mask:0xf bank_mask:0xf// 00000000D5A8: 0A8424FA FF015E9C
	v_mul_f32_dpp v67, v156, v19 row_newbcast:15 row_mask:0xf bank_mask:0xf// 00000000D5B0: 0A8626FA FF015F9C
	v_mul_f32_dpp v68, v156, v20 row_newbcast:0 row_mask:0xf bank_mask:0xf// 00000000D5B8: 0A8828FA FF01509C
	v_mul_f32_dpp v69, v156, v21 row_newbcast:1 row_mask:0xf bank_mask:0xf// 00000000D5C0: 0A8A2AFA FF01519C
	v_mul_f32_dpp v70, v156, v22 row_newbcast:2 row_mask:0xf bank_mask:0xf// 00000000D5C8: 0A8C2CFA FF01529C
	v_mul_f32_dpp v71, v156, v23 row_newbcast:3 row_mask:0xf bank_mask:0xf// 00000000D5D0: 0A8E2EFA FF01539C
	v_mul_f32_dpp v72, v156, v24 row_newbcast:4 row_mask:0xf bank_mask:0xf// 00000000D5D8: 0A9030FA FF01549C
	v_mul_f32_dpp v73, v156, v25 row_newbcast:5 row_mask:0xf bank_mask:0xf// 00000000D5E0: 0A9232FA FF01559C
	v_mul_f32_dpp v74, v156, v26 row_newbcast:6 row_mask:0xf bank_mask:0xf// 00000000D5E8: 0A9434FA FF01569C
	v_mul_f32_dpp v75, v156, v27 row_newbcast:7 row_mask:0xf bank_mask:0xf// 00000000D5F0: 0A9636FA FF01579C
	v_mul_f32_dpp v76, v156, v28 row_newbcast:8 row_mask:0xf bank_mask:0xf// 00000000D5F8: 0A9838FA FF01589C
	v_mul_f32_dpp v77, v156, v29 row_newbcast:9 row_mask:0xf bank_mask:0xf// 00000000D600: 0A9A3AFA FF01599C
	v_mul_f32_dpp v78, v156, v30 row_newbcast:10 row_mask:0xf bank_mask:0xf// 00000000D608: 0A9C3CFA FF015A9C
	v_mul_f32_dpp v79, v156, v31 row_newbcast:11 row_mask:0xf bank_mask:0xf// 00000000D610: 0A9E3EFA FF015B9C
	v_mul_f32_dpp v80, v156, v32 row_newbcast:12 row_mask:0xf bank_mask:0xf// 00000000D618: 0AA040FA FF015C9C
	v_mul_f32_dpp v81, v156, v33 row_newbcast:13 row_mask:0xf bank_mask:0xf// 00000000D620: 0AA242FA FF015D9C
	v_mul_f32_dpp v82, v156, v34 row_newbcast:14 row_mask:0xf bank_mask:0xf// 00000000D628: 0AA444FA FF015E9C
	v_mul_f32_dpp v83, v156, v35 row_newbcast:15 row_mask:0xf bank_mask:0xf// 00000000D630: 0AA646FA FF015F9C
	v_mul_f32_dpp v84, v156, v36 row_newbcast:0 row_mask:0xf bank_mask:0xf// 00000000D638: 0AA848FA FF01509C
	v_mul_f32_dpp v85, v156, v37 row_newbcast:1 row_mask:0xf bank_mask:0xf// 00000000D640: 0AAA4AFA FF01519C
	v_mul_f32_dpp v86, v156, v38 row_newbcast:2 row_mask:0xf bank_mask:0xf// 00000000D648: 0AAC4CFA FF01529C
	v_mul_f32_dpp v87, v156, v39 row_newbcast:3 row_mask:0xf bank_mask:0xf// 00000000D650: 0AAE4EFA FF01539C
	v_mul_f32_dpp v88, v156, v40 row_newbcast:4 row_mask:0xf bank_mask:0xf// 00000000D658: 0AB050FA FF01549C
	v_mul_f32_dpp v89, v156, v41 row_newbcast:5 row_mask:0xf bank_mask:0xf// 00000000D660: 0AB252FA FF01559C
	v_mul_f32_dpp v90, v156, v42 row_newbcast:6 row_mask:0xf bank_mask:0xf// 00000000D668: 0AB454FA FF01569C
	v_mul_f32_dpp v91, v156, v43 row_newbcast:7 row_mask:0xf bank_mask:0xf// 00000000D670: 0AB656FA FF01579C
	v_mul_f32_dpp v92, v156, v44 row_newbcast:8 row_mask:0xf bank_mask:0xf// 00000000D678: 0AB858FA FF01589C
	v_mul_f32_dpp v93, v156, v45 row_newbcast:9 row_mask:0xf bank_mask:0xf// 00000000D680: 0ABA5AFA FF01599C
	v_mul_f32_dpp v94, v156, v46 row_newbcast:10 row_mask:0xf bank_mask:0xf// 00000000D688: 0ABC5CFA FF015A9C
	v_mul_f32_dpp v95, v156, v47 row_newbcast:11 row_mask:0xf bank_mask:0xf// 00000000D690: 0ABE5EFA FF015B9C
	v_mul_f32_dpp v96, v156, v48 row_newbcast:12 row_mask:0xf bank_mask:0xf// 00000000D698: 0AC060FA FF015C9C
	v_mul_f32_dpp v97, v156, v49 row_newbcast:13 row_mask:0xf bank_mask:0xf// 00000000D6A0: 0AC262FA FF015D9C
	v_mul_f32_dpp v98, v156, v50 row_newbcast:14 row_mask:0xf bank_mask:0xf// 00000000D6A8: 0AC464FA FF015E9C
	v_mul_f32_dpp v99, v156, v51 row_newbcast:15 row_mask:0xf bank_mask:0xf// 00000000D6B0: 0AC666FA FF015F9C
	v_add_u32_e32 v204, s64, v221                              // 00000000D6B8: 6999BA40
	v_add_u32_e32 v205, 0, v204                                // 00000000D6BC: 699B9880
	v_cmp_lt_u32_e32 vcc, v205, v218                           // 00000000D6C0: 7D93B5CD
	v_cndmask_b32_e32 v52, 0, v52, vcc                         // 00000000D6C4: 00686880
	v_cmp_lt_u32_e32 vcc, v205, v219                           // 00000000D6C8: 7D93B7CD
	v_cndmask_b32_e32 v68, 0, v68, vcc                         // 00000000D6CC: 00888880
	v_cmp_lt_u32_e32 vcc, v205, v220                           // 00000000D6D0: 7D93B9CD
	v_cndmask_b32_e32 v84, 0, v84, vcc                         // 00000000D6D4: 00A8A880
	v_add_u32_e32 v205, 1, v204                                // 00000000D6D8: 699B9881
	v_cmp_lt_u32_e32 vcc, v205, v218                           // 00000000D6DC: 7D93B5CD
	v_cndmask_b32_e32 v53, 0, v53, vcc                         // 00000000D6E0: 006A6A80
	v_cmp_lt_u32_e32 vcc, v205, v219                           // 00000000D6E4: 7D93B7CD
	v_cndmask_b32_e32 v69, 0, v69, vcc                         // 00000000D6E8: 008A8A80
	v_cmp_lt_u32_e32 vcc, v205, v220                           // 00000000D6EC: 7D93B9CD
	v_cndmask_b32_e32 v85, 0, v85, vcc                         // 00000000D6F0: 00AAAA80
	v_add_u32_e32 v205, 2, v204                                // 00000000D6F4: 699B9882
	v_cmp_lt_u32_e32 vcc, v205, v218                           // 00000000D6F8: 7D93B5CD
	v_cndmask_b32_e32 v54, 0, v54, vcc                         // 00000000D6FC: 006C6C80
	v_cmp_lt_u32_e32 vcc, v205, v219                           // 00000000D700: 7D93B7CD
	v_cndmask_b32_e32 v70, 0, v70, vcc                         // 00000000D704: 008C8C80
	v_cmp_lt_u32_e32 vcc, v205, v220                           // 00000000D708: 7D93B9CD
	v_cndmask_b32_e32 v86, 0, v86, vcc                         // 00000000D70C: 00ACAC80
	v_add_u32_e32 v205, 3, v204                                // 00000000D710: 699B9883
	v_cmp_lt_u32_e32 vcc, v205, v218                           // 00000000D714: 7D93B5CD
	v_cndmask_b32_e32 v55, 0, v55, vcc                         // 00000000D718: 006E6E80
	v_cmp_lt_u32_e32 vcc, v205, v219                           // 00000000D71C: 7D93B7CD
	v_cndmask_b32_e32 v71, 0, v71, vcc                         // 00000000D720: 008E8E80
	v_cmp_lt_u32_e32 vcc, v205, v220                           // 00000000D724: 7D93B9CD
	v_cndmask_b32_e32 v87, 0, v87, vcc                         // 00000000D728: 00AEAE80
	v_add_u32_e32 v205, 64, v204                               // 00000000D72C: 699B98C0
	v_cmp_lt_u32_e32 vcc, v205, v218                           // 00000000D730: 7D93B5CD
	v_cndmask_b32_e32 v56, 0, v56, vcc                         // 00000000D734: 00707080
	v_cmp_lt_u32_e32 vcc, v205, v219                           // 00000000D738: 7D93B7CD
	v_cndmask_b32_e32 v72, 0, v72, vcc                         // 00000000D73C: 00909080
	v_cmp_lt_u32_e32 vcc, v205, v220                           // 00000000D740: 7D93B9CD
	v_cndmask_b32_e32 v88, 0, v88, vcc                         // 00000000D744: 00B0B080
	v_add_u32_e32 v205, 0x41, v204                             // 00000000D748: 699B98FF 00000041
	v_cmp_lt_u32_e32 vcc, v205, v218                           // 00000000D750: 7D93B5CD
	v_cndmask_b32_e32 v57, 0, v57, vcc                         // 00000000D754: 00727280
	v_cmp_lt_u32_e32 vcc, v205, v219                           // 00000000D758: 7D93B7CD
	v_cndmask_b32_e32 v73, 0, v73, vcc                         // 00000000D75C: 00929280
	v_cmp_lt_u32_e32 vcc, v205, v220                           // 00000000D760: 7D93B9CD
	v_cndmask_b32_e32 v89, 0, v89, vcc                         // 00000000D764: 00B2B280
	v_add_u32_e32 v205, 0x42, v204                             // 00000000D768: 699B98FF 00000042
	v_cmp_lt_u32_e32 vcc, v205, v218                           // 00000000D770: 7D93B5CD
	v_cndmask_b32_e32 v58, 0, v58, vcc                         // 00000000D774: 00747480
	v_cmp_lt_u32_e32 vcc, v205, v219                           // 00000000D778: 7D93B7CD
	v_cndmask_b32_e32 v74, 0, v74, vcc                         // 00000000D77C: 00949480
	v_cmp_lt_u32_e32 vcc, v205, v220                           // 00000000D780: 7D93B9CD
	v_cndmask_b32_e32 v90, 0, v90, vcc                         // 00000000D784: 00B4B480
	v_add_u32_e32 v205, 0x43, v204                             // 00000000D788: 699B98FF 00000043
	v_cmp_lt_u32_e32 vcc, v205, v218                           // 00000000D790: 7D93B5CD
	v_cndmask_b32_e32 v59, 0, v59, vcc                         // 00000000D794: 00767680
	v_cmp_lt_u32_e32 vcc, v205, v219                           // 00000000D798: 7D93B7CD
	v_cndmask_b32_e32 v75, 0, v75, vcc                         // 00000000D79C: 00969680
	v_cmp_lt_u32_e32 vcc, v205, v220                           // 00000000D7A0: 7D93B9CD
	v_cndmask_b32_e32 v91, 0, v91, vcc                         // 00000000D7A4: 00B6B680
	v_add_u32_e32 v205, 0x80, v204                             // 00000000D7A8: 699B98FF 00000080
	v_cmp_lt_u32_e32 vcc, v205, v218                           // 00000000D7B0: 7D93B5CD
	v_cndmask_b32_e32 v60, 0, v60, vcc                         // 00000000D7B4: 00787880
	v_cmp_lt_u32_e32 vcc, v205, v219                           // 00000000D7B8: 7D93B7CD
	v_cndmask_b32_e32 v76, 0, v76, vcc                         // 00000000D7BC: 00989880
	v_cmp_lt_u32_e32 vcc, v205, v220                           // 00000000D7C0: 7D93B9CD
	v_cndmask_b32_e32 v92, 0, v92, vcc                         // 00000000D7C4: 00B8B880
	v_add_u32_e32 v205, 0x81, v204                             // 00000000D7C8: 699B98FF 00000081
	v_cmp_lt_u32_e32 vcc, v205, v218                           // 00000000D7D0: 7D93B5CD
	v_cndmask_b32_e32 v61, 0, v61, vcc                         // 00000000D7D4: 007A7A80
	v_cmp_lt_u32_e32 vcc, v205, v219                           // 00000000D7D8: 7D93B7CD
	v_cndmask_b32_e32 v77, 0, v77, vcc                         // 00000000D7DC: 009A9A80
	v_cmp_lt_u32_e32 vcc, v205, v220                           // 00000000D7E0: 7D93B9CD
	v_cndmask_b32_e32 v93, 0, v93, vcc                         // 00000000D7E4: 00BABA80
	v_add_u32_e32 v205, 0x82, v204                             // 00000000D7E8: 699B98FF 00000082
	v_cmp_lt_u32_e32 vcc, v205, v218                           // 00000000D7F0: 7D93B5CD
	v_cndmask_b32_e32 v62, 0, v62, vcc                         // 00000000D7F4: 007C7C80
	v_cmp_lt_u32_e32 vcc, v205, v219                           // 00000000D7F8: 7D93B7CD
	v_cndmask_b32_e32 v78, 0, v78, vcc                         // 00000000D7FC: 009C9C80
	v_cmp_lt_u32_e32 vcc, v205, v220                           // 00000000D800: 7D93B9CD
	v_cndmask_b32_e32 v94, 0, v94, vcc                         // 00000000D804: 00BCBC80
	v_add_u32_e32 v205, 0x83, v204                             // 00000000D808: 699B98FF 00000083
	v_cmp_lt_u32_e32 vcc, v205, v218                           // 00000000D810: 7D93B5CD
	v_cndmask_b32_e32 v63, 0, v63, vcc                         // 00000000D814: 007E7E80
	v_cmp_lt_u32_e32 vcc, v205, v219                           // 00000000D818: 7D93B7CD
	v_cndmask_b32_e32 v79, 0, v79, vcc                         // 00000000D81C: 009E9E80
	v_cmp_lt_u32_e32 vcc, v205, v220                           // 00000000D820: 7D93B9CD
	v_cndmask_b32_e32 v95, 0, v95, vcc                         // 00000000D824: 00BEBE80
	v_add_u32_e32 v205, 0xc0, v204                             // 00000000D828: 699B98FF 000000C0
	v_cmp_lt_u32_e32 vcc, v205, v218                           // 00000000D830: 7D93B5CD
	v_cndmask_b32_e32 v64, 0, v64, vcc                         // 00000000D834: 00808080
	v_cmp_lt_u32_e32 vcc, v205, v219                           // 00000000D838: 7D93B7CD
	v_cndmask_b32_e32 v80, 0, v80, vcc                         // 00000000D83C: 00A0A080
	v_cmp_lt_u32_e32 vcc, v205, v220                           // 00000000D840: 7D93B9CD
	v_cndmask_b32_e32 v96, 0, v96, vcc                         // 00000000D844: 00C0C080
	v_add_u32_e32 v205, 0xc1, v204                             // 00000000D848: 699B98FF 000000C1
	v_cmp_lt_u32_e32 vcc, v205, v218                           // 00000000D850: 7D93B5CD
	v_cndmask_b32_e32 v65, 0, v65, vcc                         // 00000000D854: 00828280
	v_cmp_lt_u32_e32 vcc, v205, v219                           // 00000000D858: 7D93B7CD
	v_cndmask_b32_e32 v81, 0, v81, vcc                         // 00000000D85C: 00A2A280
	v_cmp_lt_u32_e32 vcc, v205, v220                           // 00000000D860: 7D93B9CD
	v_cndmask_b32_e32 v97, 0, v97, vcc                         // 00000000D864: 00C2C280
	v_add_u32_e32 v205, 0xc2, v204                             // 00000000D868: 699B98FF 000000C2
	v_cmp_lt_u32_e32 vcc, v205, v218                           // 00000000D870: 7D93B5CD
	v_cndmask_b32_e32 v66, 0, v66, vcc                         // 00000000D874: 00848480
	v_cmp_lt_u32_e32 vcc, v205, v219                           // 00000000D878: 7D93B7CD
	v_cndmask_b32_e32 v82, 0, v82, vcc                         // 00000000D87C: 00A4A480
	v_cmp_lt_u32_e32 vcc, v205, v220                           // 00000000D880: 7D93B9CD
	v_cndmask_b32_e32 v98, 0, v98, vcc                         // 00000000D884: 00C4C480
	v_add_u32_e32 v205, 0xc3, v204                             // 00000000D888: 699B98FF 000000C3
	v_cmp_lt_u32_e32 vcc, v205, v218                           // 00000000D890: 7D93B5CD
	v_cndmask_b32_e32 v67, 0, v67, vcc                         // 00000000D894: 00868680
	v_cmp_lt_u32_e32 vcc, v205, v219                           // 00000000D898: 7D93B7CD
	v_cndmask_b32_e32 v83, 0, v83, vcc                         // 00000000D89C: 00A6A680
	v_cmp_lt_u32_e32 vcc, v205, v220                           // 00000000D8A0: 7D93B9CD
	v_cndmask_b32_e32 v99, 0, v99, vcc                         // 00000000D8A4: 00C6C680
	v_mov_b32_e32 v182, 0x358637bd                             // 00000000D8A8: 7F6C02FF 358637BD
	v_max3_f32 v182, |v52|, |v53|, v182                        // 00000000D8B0: D1D303B6 06DA6B34
	v_max3_f32 v182, |v54|, |v55|, v182                        // 00000000D8B8: D1D303B6 06DA6F36
	v_max3_f32 v182, |v56|, |v57|, v182                        // 00000000D8C0: D1D303B6 06DA7338
	v_max3_f32 v182, |v58|, |v59|, v182                        // 00000000D8C8: D1D303B6 06DA773A
	v_max3_f32 v182, |v60|, |v61|, v182                        // 00000000D8D0: D1D303B6 06DA7B3C
	v_max3_f32 v182, |v62|, |v63|, v182                        // 00000000D8D8: D1D303B6 06DA7F3E
	v_max3_f32 v182, |v64|, |v65|, v182                        // 00000000D8E0: D1D303B6 06DA8340
	v_max3_f32 v182, |v66|, |v67|, v182                        // 00000000D8E8: D1D303B6 06DA8742
	v_mov_b32_e32 v183, 0x358637bd                             // 00000000D8F0: 7F6E02FF 358637BD
	v_max3_f32 v183, |v68|, |v69|, v183                        // 00000000D8F8: D1D303B7 06DE8B44
	v_max3_f32 v183, |v70|, |v71|, v183                        // 00000000D900: D1D303B7 06DE8F46
	v_max3_f32 v183, |v72|, |v73|, v183                        // 00000000D908: D1D303B7 06DE9348
	v_max3_f32 v183, |v74|, |v75|, v183                        // 00000000D910: D1D303B7 06DE974A
	v_max3_f32 v183, |v76|, |v77|, v183                        // 00000000D918: D1D303B7 06DE9B4C
	v_max3_f32 v183, |v78|, |v79|, v183                        // 00000000D920: D1D303B7 06DE9F4E
	v_max3_f32 v183, |v80|, |v81|, v183                        // 00000000D928: D1D303B7 06DEA350
	v_max3_f32 v183, |v82|, |v83|, v183                        // 00000000D930: D1D303B7 06DEA752
	v_mov_b32_e32 v184, 0x358637bd                             // 00000000D938: 7F7002FF 358637BD
	v_max3_f32 v184, |v84|, |v85|, v184                        // 00000000D940: D1D303B8 06E2AB54
	v_max3_f32 v184, |v86|, |v87|, v184                        // 00000000D948: D1D303B8 06E2AF56
	v_max3_f32 v184, |v88|, |v89|, v184                        // 00000000D950: D1D303B8 06E2B358
	v_max3_f32 v184, |v90|, |v91|, v184                        // 00000000D958: D1D303B8 06E2B75A
	v_max3_f32 v184, |v92|, |v93|, v184                        // 00000000D960: D1D303B8 06E2BB5C
	v_max3_f32 v184, |v94|, |v95|, v184                        // 00000000D968: D1D303B8 06E2BF5E
	v_max3_f32 v184, |v96|, |v97|, v184                        // 00000000D970: D1D303B8 06E2C360
	v_max3_f32 v184, |v98|, |v99|, v184                        // 00000000D978: D1D303B8 06E2C762
	ds_bpermute_b32 v188, v208, v182                           // 00000000D980: D87E0000 BC00B6D0
	ds_bpermute_b32 v189, v209, v182                           // 00000000D988: D87E0000 BD00B6D1
	ds_bpermute_b32 v190, v210, v182                           // 00000000D990: D87E0000 BE00B6D2
	ds_bpermute_b32 v191, v208, v183                           // 00000000D998: D87E0000 BF00B7D0
	ds_bpermute_b32 v192, v209, v183                           // 00000000D9A0: D87E0000 C000B7D1
	ds_bpermute_b32 v193, v210, v183                           // 00000000D9A8: D87E0000 C100B7D2
	ds_bpermute_b32 v194, v208, v184                           // 00000000D9B0: D87E0000 C200B8D0
	ds_bpermute_b32 v195, v209, v184                           // 00000000D9B8: D87E0000 C300B8D1
	ds_bpermute_b32 v196, v210, v184                           // 00000000D9C0: D87E0000 C400B8D2
	s_waitcnt lgkmcnt(6)                                       // 00000000D9C8: BF8CC67F
	v_max3_f32 v182, v188, v189, v182                          // 00000000D9CC: D1D300B6 06DB7BBC
	v_max_f32_e32 v182, v190, v182                             // 00000000D9D4: 176D6DBE
	s_waitcnt lgkmcnt(3)                                       // 00000000D9D8: BF8CC37F
	v_max3_f32 v183, v191, v192, v183                          // 00000000D9DC: D1D300B7 06DF81BF
	v_max_f32_e32 v183, v193, v183                             // 00000000D9E4: 176F6FC1
	s_waitcnt lgkmcnt(0)                                       // 00000000D9E8: BF8CC07F
	v_max3_f32 v184, v194, v195, v184                          // 00000000D9EC: D1D300B8 06E387C2
	v_max_f32_e32 v184, v196, v184                             // 00000000D9F4: 177171C4
	ds_write_b128 v249, v[182:185] offset:4096                 // 00000000D9F8: D9BE1000 0000B6F9
	buffer_load_dword v155, v235, s[20:23], 0 offen            // 00000000DA00: E0501000 80059BEB
	v_sub_f32_e32 v170, v164, v167                             // 00000000DA08: 05554FA4
	v_cmp_eq_u32_e64 s[98:99], v222, v164                      // 00000000DA0C: D0CA0062 000349DE
	v_cndmask_b32_e64 v170, v170, 0, s[98:99]                  // 00000000DA14: D10000AA 018901AA
	v_mov_b32_e32 v164, v167                                   // 00000000DA1C: 7F4803A7
	v_mul_f32_e32 v170, s46, v170                              // 00000000DA20: 0B55542E
	v_exp_f32_e32 v170, v170                                   // 00000000DA24: 7F5441AA
	v_sub_f32_e32 v172, v165, v168                             // 00000000DA28: 055951A5
	v_cmp_eq_u32_e64 s[98:99], v222, v165                      // 00000000DA2C: D0CA0062 00034BDE
	v_cndmask_b32_e64 v172, v172, 0, s[98:99]                  // 00000000DA34: D10000AC 018901AC
	v_mov_b32_e32 v165, v168                                   // 00000000DA3C: 7F4A03A8
	v_mul_f32_e32 v172, s46, v172                              // 00000000DA40: 0B59582E
	v_exp_f32_e32 v172, v172                                   // 00000000DA44: 7F5841AC
	v_sub_f32_e32 v174, v166, v169                             // 00000000DA48: 055D53A6
	v_cmp_eq_u32_e64 s[98:99], v222, v166                      // 00000000DA4C: D0CA0062 00034DDE
	v_cndmask_b32_e64 v174, v174, 0, s[98:99]                  // 00000000DA54: D10000AE 018901AE
	v_mov_b32_e32 v166, v169                                   // 00000000DA5C: 7F4C03A9
	v_mul_f32_e32 v174, s46, v174                              // 00000000DA60: 0B5D5C2E
	v_exp_f32_e32 v174, v174                                   // 00000000DA64: 7F5C41AE
	v_mov_b32_e32 v171, v170                                   // 00000000DA68: 7F5603AA
	v_mov_b32_e32 v173, v172                                   // 00000000DA6C: 7F5A03AC
	v_mov_b32_e32 v175, v174                                   // 00000000DA70: 7F5E03AE
	s_waitcnt lgkmcnt(0)                                       // 00000000DA74: BF8CC07F
	s_barrier                                                  // 00000000DA78: BF8A0000
	ds_read_b128 v[188:191], v250 offset:4096                  // 00000000DA7C: D9FE1000 BC0000FA
	ds_read_b128 v[192:195], v250 offset:4352                  // 00000000DA84: D9FE1100 C00000FA
	ds_read_b128 v[196:199], v250 offset:4608                  // 00000000DA8C: D9FE1200 C40000FA
	ds_read_b128 v[200:203], v250 offset:4864                  // 00000000DA94: D9FE1300 C80000FA
	buffer_load_dword v157, v236, s[24:27], 0 offen            // 00000000DA9C: E0501000 80069DEC
	v_mul_f32_e32 v176, v170, v176                             // 00000000DAA4: 0B6161AA
	v_mov_b32_e32 v177, 0                                      // 00000000DAA8: 7F620280
	v_pk_add_f32 v[176:177], v[4:5], v[176:177]                // 00000000DAAC: D3B240B0 18036104
	v_pk_add_f32 v[176:177], v[6:7], v[176:177]                // 00000000DAB4: D3B240B0 18036106
	v_pk_add_f32 v[176:177], v[8:9], v[176:177]                // 00000000DABC: D3B240B0 18036108
	v_pk_add_f32 v[176:177], v[10:11], v[176:177]              // 00000000DAC4: D3B240B0 1803610A
	v_pk_add_f32 v[176:177], v[12:13], v[176:177]              // 00000000DACC: D3B240B0 1803610C
	v_pk_add_f32 v[176:177], v[14:15], v[176:177]              // 00000000DAD4: D3B240B0 1803610E
	v_pk_add_f32 v[176:177], v[16:17], v[176:177]              // 00000000DADC: D3B240B0 18036110
	v_pk_add_f32 v[176:177], v[18:19], v[176:177]              // 00000000DAE4: D3B240B0 18036112
	v_add_f32_e32 v176, v177, v176                             // 00000000DAEC: 036161B1
	v_mul_f32_e32 v178, v172, v178                             // 00000000DAF0: 0B6565AC
	v_mov_b32_e32 v179, 0                                      // 00000000DAF4: 7F660280
	v_pk_add_f32 v[178:179], v[20:21], v[178:179]              // 00000000DAF8: D3B240B2 18036514
	v_pk_add_f32 v[178:179], v[22:23], v[178:179]              // 00000000DB00: D3B240B2 18036516
	v_pk_add_f32 v[178:179], v[24:25], v[178:179]              // 00000000DB08: D3B240B2 18036518
	v_pk_add_f32 v[178:179], v[26:27], v[178:179]              // 00000000DB10: D3B240B2 1803651A
	v_pk_add_f32 v[178:179], v[28:29], v[178:179]              // 00000000DB18: D3B240B2 1803651C
	v_pk_add_f32 v[178:179], v[30:31], v[178:179]              // 00000000DB20: D3B240B2 1803651E
	v_pk_add_f32 v[178:179], v[32:33], v[178:179]              // 00000000DB28: D3B240B2 18036520
	v_pk_add_f32 v[178:179], v[34:35], v[178:179]              // 00000000DB30: D3B240B2 18036522
	v_add_f32_e32 v178, v179, v178                             // 00000000DB38: 036565B3
	v_mul_f32_e32 v180, v174, v180                             // 00000000DB3C: 0B6969AE
	v_mov_b32_e32 v181, 0                                      // 00000000DB40: 7F6A0280
	v_pk_add_f32 v[180:181], v[36:37], v[180:181]              // 00000000DB44: D3B240B4 18036924
	v_pk_add_f32 v[180:181], v[38:39], v[180:181]              // 00000000DB4C: D3B240B4 18036926
	v_pk_add_f32 v[180:181], v[40:41], v[180:181]              // 00000000DB54: D3B240B4 18036928
	v_pk_add_f32 v[180:181], v[42:43], v[180:181]              // 00000000DB5C: D3B240B4 1803692A
	v_pk_add_f32 v[180:181], v[44:45], v[180:181]              // 00000000DB64: D3B240B4 1803692C
	v_pk_add_f32 v[180:181], v[46:47], v[180:181]              // 00000000DB6C: D3B240B4 1803692E
	v_pk_add_f32 v[180:181], v[48:49], v[180:181]              // 00000000DB74: D3B240B4 18036930
	v_pk_add_f32 v[180:181], v[50:51], v[180:181]              // 00000000DB7C: D3B240B4 18036932
	v_add_f32_e32 v180, v181, v180                             // 00000000DB84: 036969B5
	s_waitcnt lgkmcnt(0)                                       // 00000000DB88: BF8CC07F
	v_max3_f32 v182, v188, v192, v182                          // 00000000DB8C: D1D300B6 06DB81BC
	v_max3_f32 v183, v189, v193, v183                          // 00000000DB94: D1D300B7 06DF83BD
	v_max3_f32 v184, v190, v194, v184                          // 00000000DB9C: D1D300B8 06E385BE
	v_max3_f32 v182, v196, v200, v182                          // 00000000DBA4: D1D300B6 06DB91C4
	v_max3_f32 v183, v197, v201, v183                          // 00000000DBAC: D1D300B7 06DF93C5
	v_max3_f32 v184, v198, v202, v184                          // 00000000DBB4: D1D300B8 06E395C6
	v_rcp_f32_e32 v182, v182                                   // 00000000DBBC: 7F6C45B6
	v_rcp_f32_e32 v183, v183                                   // 00000000DBC0: 7F6E45B7
	v_rcp_f32_e32 v184, v184                                   // 00000000DBC4: 7F7045B8
	v_mul_f32_e32 v182, 0x43700000, v182                       // 00000000DBC8: 0B6D6CFF 43700000
	v_mul_f32_e32 v183, 0x43700000, v183                       // 00000000DBD0: 0B6F6EFF 43700000
	v_mul_f32_e32 v184, 0x43700000, v184                       // 00000000DBD8: 0B7170FF 43700000
	v_mov_b32_e32 v186, v184                                   // 00000000DBE0: 7F7403B8
	v_mov_b32_e32 v187, v184                                   // 00000000DBE4: 7F7603B8
	v_mov_b32_e32 v184, v183                                   // 00000000DBE8: 7F7003B7
	v_mov_b32_e32 v185, v183                                   // 00000000DBEC: 7F7203B7
	v_mov_b32_e32 v183, v182                                   // 00000000DBF0: 7F6E03B6
	v_pk_mul_f32 v[4:5], v[182:183], v[52:53]                  // 00000000DBF4: D3B14004 180269B6
	v_pk_mul_f32 v[6:7], v[182:183], v[54:55]                  // 00000000DBFC: D3B14006 18026DB6
	v_pk_mul_f32 v[8:9], v[182:183], v[56:57]                  // 00000000DC04: D3B14008 180271B6
	v_pk_mul_f32 v[10:11], v[182:183], v[58:59]                // 00000000DC0C: D3B1400A 180275B6
	v_pk_mul_f32 v[12:13], v[182:183], v[60:61]                // 00000000DC14: D3B1400C 180279B6
	v_pk_mul_f32 v[14:15], v[182:183], v[62:63]                // 00000000DC1C: D3B1400E 18027DB6
	v_pk_mul_f32 v[16:17], v[182:183], v[64:65]                // 00000000DC24: D3B14010 180281B6
	v_pk_mul_f32 v[18:19], v[182:183], v[66:67]                // 00000000DC2C: D3B14012 180285B6
	v_pk_mul_f32 v[20:21], v[184:185], v[68:69]                // 00000000DC34: D3B14014 180289B8
	v_pk_mul_f32 v[22:23], v[184:185], v[70:71]                // 00000000DC3C: D3B14016 18028DB8
	v_pk_mul_f32 v[24:25], v[184:185], v[72:73]                // 00000000DC44: D3B14018 180291B8
	v_pk_mul_f32 v[26:27], v[184:185], v[74:75]                // 00000000DC4C: D3B1401A 180295B8
	v_pk_mul_f32 v[28:29], v[184:185], v[76:77]                // 00000000DC54: D3B1401C 180299B8
	v_pk_mul_f32 v[30:31], v[184:185], v[78:79]                // 00000000DC5C: D3B1401E 18029DB8
	v_pk_mul_f32 v[32:33], v[184:185], v[80:81]                // 00000000DC64: D3B14020 1802A1B8
	v_pk_mul_f32 v[34:35], v[184:185], v[82:83]                // 00000000DC6C: D3B14022 1802A5B8
	v_pk_mul_f32 v[36:37], v[186:187], v[84:85]                // 00000000DC74: D3B14024 1802A9BA
	v_pk_mul_f32 v[38:39], v[186:187], v[86:87]                // 00000000DC7C: D3B14026 1802ADBA
	v_pk_mul_f32 v[40:41], v[186:187], v[88:89]                // 00000000DC84: D3B14028 1802B1BA
	v_pk_mul_f32 v[42:43], v[186:187], v[90:91]                // 00000000DC8C: D3B1402A 1802B5BA
	v_pk_mul_f32 v[44:45], v[186:187], v[92:93]                // 00000000DC94: D3B1402C 1802B9BA
	v_pk_mul_f32 v[46:47], v[186:187], v[94:95]                // 00000000DC9C: D3B1402E 1802BDBA
	v_pk_mul_f32 v[48:49], v[186:187], v[96:97]                // 00000000DCA4: D3B14030 1802C1BA
	v_pk_mul_f32 v[50:51], v[186:187], v[98:99]                // 00000000DCAC: D3B14032 1802C5BA
	v_cvt_pk_fp8_f32 v4, v4, v5                                // 00000000DCB4: D2A20004 00020B04
	v_cvt_pk_fp8_f32 v4, v6, v7 op_sel:[0,0,1]                 // 00000000DCBC: D2A24004 00020F06
	v_cvt_pk_fp8_f32 v5, v8, v9                                // 00000000DCC4: D2A20005 00021308
	v_cvt_pk_fp8_f32 v5, v10, v11 op_sel:[0,0,1]               // 00000000DCCC: D2A24005 0002170A
	v_cvt_pk_fp8_f32 v6, v12, v13                              // 00000000DCD4: D2A20006 00021B0C
	v_cvt_pk_fp8_f32 v6, v14, v15 op_sel:[0,0,1]               // 00000000DCDC: D2A24006 00021F0E
	v_cvt_pk_fp8_f32 v7, v16, v17                              // 00000000DCE4: D2A20007 00022310
	v_cvt_pk_fp8_f32 v7, v18, v19 op_sel:[0,0,1]               // 00000000DCEC: D2A24007 00022712
	v_cvt_pk_fp8_f32 v8, v20, v21                              // 00000000DCF4: D2A20008 00022B14
	v_cvt_pk_fp8_f32 v8, v22, v23 op_sel:[0,0,1]               // 00000000DCFC: D2A24008 00022F16
	v_cvt_pk_fp8_f32 v9, v24, v25                              // 00000000DD04: D2A20009 00023318
	v_cvt_pk_fp8_f32 v9, v26, v27 op_sel:[0,0,1]               // 00000000DD0C: D2A24009 0002371A
	v_cvt_pk_fp8_f32 v10, v28, v29                             // 00000000DD14: D2A2000A 00023B1C
	v_cvt_pk_fp8_f32 v10, v30, v31 op_sel:[0,0,1]              // 00000000DD1C: D2A2400A 00023F1E
	v_cvt_pk_fp8_f32 v11, v32, v33                             // 00000000DD24: D2A2000B 00024320
	v_cvt_pk_fp8_f32 v11, v34, v35 op_sel:[0,0,1]              // 00000000DD2C: D2A2400B 00024722
	v_cvt_pk_fp8_f32 v12, v36, v37                             // 00000000DD34: D2A2000C 00024B24
	v_cvt_pk_fp8_f32 v12, v38, v39 op_sel:[0,0,1]              // 00000000DD3C: D2A2400C 00024F26
	v_cvt_pk_fp8_f32 v13, v40, v41                             // 00000000DD44: D2A2000D 00025328
	v_cvt_pk_fp8_f32 v13, v42, v43 op_sel:[0,0,1]              // 00000000DD4C: D2A2400D 0002572A
	v_cvt_pk_fp8_f32 v14, v44, v45                             // 00000000DD54: D2A2000E 00025B2C
	v_cvt_pk_fp8_f32 v14, v46, v47 op_sel:[0,0,1]              // 00000000DD5C: D2A2400E 00025F2E
	v_cvt_pk_fp8_f32 v15, v48, v49                             // 00000000DD64: D2A2000F 00026330
	v_cvt_pk_fp8_f32 v15, v50, v51 op_sel:[0,0,1]              // 00000000DD6C: D2A2400F 00026732
	ds_write_b32 v251, v4 offset:8192                          // 00000000DD74: D81A2000 000004FB
	ds_write_b32 v251, v5 offset:9216                          // 00000000DD7C: D81A2400 000005FB
	ds_write_b32 v251, v6 offset:10240                         // 00000000DD84: D81A2800 000006FB
	ds_write_b32 v251, v7 offset:11264                         // 00000000DD8C: D81A2C00 000007FB
	ds_write_b32 v251, v8 offset:12288                         // 00000000DD94: D81A3000 000008FB
	ds_write_b32 v251, v9 offset:13312                         // 00000000DD9C: D81A3400 000009FB
	ds_write_b32 v251, v10 offset:14336                        // 00000000DDA4: D81A3800 00000AFB
	ds_write_b32 v251, v11 offset:15360                        // 00000000DDAC: D81A3C00 00000BFB
	ds_write_b32 v251, v12 offset:16384                        // 00000000DDB4: D81A4000 00000CFB
	ds_write_b32 v251, v13 offset:17408                        // 00000000DDBC: D81A4400 00000DFB
	ds_write_b32 v251, v14 offset:18432                        // 00000000DDC4: D81A4800 00000EFB
	ds_write_b32 v251, v15 offset:19456                        // 00000000DDCC: D81A4C00 00000FFB
	v_rcp_f32_e32 v158, v182                                   // 00000000DDD4: 7F3C45B6
	v_rcp_f32_e32 v160, v184                                   // 00000000DDD8: 7F4045B8
	v_rcp_f32_e32 v162, v186                                   // 00000000DDDC: 7F4445BA
	v_mov_b32_e32 v159, v158                                   // 00000000DDE0: 7F3E039E
	v_mov_b32_e32 v161, v160                                   // 00000000DDE4: 7F4203A0
	v_mov_b32_e32 v163, v162                                   // 00000000DDE8: 7F4603A2
	v_pk_add_f32 v[124:125], v[124:125], v[100:101]            // 00000000DDEC: D3B2407C 1802C97C
	v_pk_add_f32 v[126:127], v[126:127], v[102:103]            // 00000000DDF4: D3B2407E 1802CD7E
	v_pk_add_f32 v[128:129], v[128:129], v[104:105]            // 00000000DDFC: D3B24080 1802D180
	v_pk_add_f32 v[130:131], v[130:131], v[106:107]            // 00000000DE04: D3B24082 1802D582
	v_pk_add_f32 v[132:133], v[132:133], v[108:109]            // 00000000DE0C: D3B24084 1802D984
	v_pk_add_f32 v[134:135], v[134:135], v[110:111]            // 00000000DE14: D3B24086 1802DD86
	v_pk_add_f32 v[136:137], v[136:137], v[112:113]            // 00000000DE1C: D3B24088 1802E188
	v_pk_add_f32 v[138:139], v[138:139], v[114:115]            // 00000000DE24: D3B2408A 1802E58A
	v_pk_add_f32 v[140:141], v[140:141], v[116:117]            // 00000000DE2C: D3B2408C 1802E98C
	v_pk_add_f32 v[142:143], v[142:143], v[118:119]            // 00000000DE34: D3B2408E 1802ED8E
	v_pk_add_f32 v[144:145], v[144:145], v[120:121]            // 00000000DE3C: D3B24090 1802F190
	v_pk_add_f32 v[146:147], v[146:147], v[122:123]            // 00000000DE44: D3B24092 1802F592
	s_waitcnt lgkmcnt(0)                                       // 00000000DE4C: BF8CC07F
	s_barrier                                                  // 00000000DE50: BF8A0000
	ds_read_b128 v[4:7], v252 offset:8192                      // 00000000DE54: D9FE2000 040000FC
	ds_read_b128 v[8:11], v252 offset:9216                     // 00000000DE5C: D9FE2400 080000FC
	ds_read_b128 v[12:15], v252 offset:10240                   // 00000000DE64: D9FE2800 0C0000FC
	ds_read_b128 v[16:19], v252 offset:11264                   // 00000000DE6C: D9FE2C00 100000FC
	ds_read_b128 v[20:23], v252 offset:12288                   // 00000000DE74: D9FE3000 140000FC
	ds_read_b128 v[24:27], v252 offset:13312                   // 00000000DE7C: D9FE3400 180000FC
	ds_read_b128 v[28:31], v252 offset:14336                   // 00000000DE84: D9FE3800 1C0000FC
	ds_read_b128 v[32:35], v252 offset:15360                   // 00000000DE8C: D9FE3C00 200000FC
	ds_read_b128 v[36:39], v252 offset:16384                   // 00000000DE94: D9FE4000 240000FC
	ds_read_b128 v[40:43], v252 offset:17408                   // 00000000DE9C: D9FE4400 280000FC
	ds_read_b128 v[44:47], v252 offset:18432                   // 00000000DEA4: D9FE4800 2C0000FC
	ds_read_b128 v[48:51], v252 offset:19456                   // 00000000DEAC: D9FE4C00 300000FC
	s_waitcnt vmcnt(10)                                        // 00000000DEB4: BF8C0F7A
	v_lshrrev_b32_e32 v211, 4, v0                              // 00000000DEB8: 21A60084
	v_lshlrev_b32_e32 v211, 4, v211                            // 00000000DEBC: 25A7A684
	v_add_u32_e32 v204, s64, v211                              // 00000000DEC0: 6999A640
	v_add_u32_e32 v204, 4, v204                                // 00000000DEC4: 69999884
	v_sub_i32 v204, v204, s62                                  // 00000000DEC8: D29D00CC 00007DCC
	s_mov_b32 s54, 0                                           // 00000000DED0: BEB60080
	v_add_i32 v205, s54, v204                                  // 00000000DED4: D29C00CD 00039836
	v_cmp_lt_i32_e64 vcc, v205, 4                              // 00000000DEDC: D0C1006A 000109CD
	v_min_u32_e32 v205, 4, v205                                // 00000000DEE4: 1D9B9A84
	v_lshlrev_b32_e32 v205, 3, v205                            // 00000000DEE8: 259B9A83
	v_lshrrev_b32_e64 v206, v205, -1                           // 00000000DEEC: D11000CE 000183CD
	v_accvgpr_read_b32 v207, a88                               // 00000000DEF4: D3D840CF 18000158
	v_cndmask_b32_e32 v207, 0, v207, vcc                       // 00000000DEFC: 019F9E80
	v_and_b32_e32 v207, v207, v206                             // 00000000DF00: 279F9DCF
	v_accvgpr_write_b32 a88, v207                              // 00000000DF04: D3D94058 180001CF
	v_accvgpr_read_b32 v207, a104                              // 00000000DF0C: D3D840CF 18000168
	v_cndmask_b32_e32 v207, 0, v207, vcc                       // 00000000DF14: 019F9E80
	v_and_b32_e32 v207, v207, v206                             // 00000000DF18: 279F9DCF
	v_accvgpr_write_b32 a104, v207                             // 00000000DF1C: D3D94068 180001CF
	s_mov_b32 s54, 4                                           // 00000000DF24: BEB60084
	v_add_i32 v205, s54, v204                                  // 00000000DF28: D29C00CD 00039836
	v_cmp_lt_i32_e64 vcc, v205, 4                              // 00000000DF30: D0C1006A 000109CD
	v_min_u32_e32 v205, 4, v205                                // 00000000DF38: 1D9B9A84
	v_lshlrev_b32_e32 v205, 3, v205                            // 00000000DF3C: 259B9A83
	v_lshrrev_b32_e64 v206, v205, -1                           // 00000000DF40: D11000CE 000183CD
	v_accvgpr_read_b32 v207, a89                               // 00000000DF48: D3D840CF 18000159
	v_cndmask_b32_e32 v207, 0, v207, vcc                       // 00000000DF50: 019F9E80
	v_and_b32_e32 v207, v207, v206                             // 00000000DF54: 279F9DCF
	v_accvgpr_write_b32 a89, v207                              // 00000000DF58: D3D94059 180001CF
	v_accvgpr_read_b32 v207, a105                              // 00000000DF60: D3D840CF 18000169
	v_cndmask_b32_e32 v207, 0, v207, vcc                       // 00000000DF68: 019F9E80
	v_and_b32_e32 v207, v207, v206                             // 00000000DF6C: 279F9DCF
	v_accvgpr_write_b32 a105, v207                             // 00000000DF70: D3D94069 180001CF
	s_mov_b32 s54, 8                                           // 00000000DF78: BEB60088
	v_add_i32 v205, s54, v204                                  // 00000000DF7C: D29C00CD 00039836
	v_cmp_lt_i32_e64 vcc, v205, 4                              // 00000000DF84: D0C1006A 000109CD
	v_min_u32_e32 v205, 4, v205                                // 00000000DF8C: 1D9B9A84
	v_lshlrev_b32_e32 v205, 3, v205                            // 00000000DF90: 259B9A83
	v_lshrrev_b32_e64 v206, v205, -1                           // 00000000DF94: D11000CE 000183CD
	v_accvgpr_read_b32 v207, a90                               // 00000000DF9C: D3D840CF 1800015A
	v_cndmask_b32_e32 v207, 0, v207, vcc                       // 00000000DFA4: 019F9E80
	v_and_b32_e32 v207, v207, v206                             // 00000000DFA8: 279F9DCF
	v_accvgpr_write_b32 a90, v207                              // 00000000DFAC: D3D9405A 180001CF
	v_accvgpr_read_b32 v207, a106                              // 00000000DFB4: D3D840CF 1800016A
	v_cndmask_b32_e32 v207, 0, v207, vcc                       // 00000000DFBC: 019F9E80
	v_and_b32_e32 v207, v207, v206                             // 00000000DFC0: 279F9DCF
	v_accvgpr_write_b32 a106, v207                             // 00000000DFC4: D3D9406A 180001CF
	s_mov_b32 s54, 12                                          // 00000000DFCC: BEB6008C
	v_add_i32 v205, s54, v204                                  // 00000000DFD0: D29C00CD 00039836
	v_cmp_lt_i32_e64 vcc, v205, 4                              // 00000000DFD8: D0C1006A 000109CD
	v_min_u32_e32 v205, 4, v205                                // 00000000DFE0: 1D9B9A84
	v_lshlrev_b32_e32 v205, 3, v205                            // 00000000DFE4: 259B9A83
	v_lshrrev_b32_e64 v206, v205, -1                           // 00000000DFE8: D11000CE 000183CD
	v_accvgpr_read_b32 v207, a91                               // 00000000DFF0: D3D840CF 1800015B
	v_cndmask_b32_e32 v207, 0, v207, vcc                       // 00000000DFF8: 019F9E80
	v_and_b32_e32 v207, v207, v206                             // 00000000DFFC: 279F9DCF
	v_accvgpr_write_b32 a91, v207                              // 00000000E000: D3D9405B 180001CF
	v_accvgpr_read_b32 v207, a107                              // 00000000E008: D3D840CF 1800016B
	v_cndmask_b32_e32 v207, 0, v207, vcc                       // 00000000E010: 019F9E80
	v_and_b32_e32 v207, v207, v206                             // 00000000E014: 279F9DCF
	v_accvgpr_write_b32 a107, v207                             // 00000000E018: D3D9406B 180001CF
	s_mov_b32 s54, 64                                          // 00000000E020: BEB600C0
	v_add_i32 v205, s54, v204                                  // 00000000E024: D29C00CD 00039836
	v_cmp_lt_i32_e64 vcc, v205, 4                              // 00000000E02C: D0C1006A 000109CD
	v_min_u32_e32 v205, 4, v205                                // 00000000E034: 1D9B9A84
	v_lshlrev_b32_e32 v205, 3, v205                            // 00000000E038: 259B9A83
	v_lshrrev_b32_e64 v206, v205, -1                           // 00000000E03C: D11000CE 000183CD
	v_accvgpr_read_b32 v207, a92                               // 00000000E044: D3D840CF 1800015C
	v_cndmask_b32_e32 v207, 0, v207, vcc                       // 00000000E04C: 019F9E80
	v_and_b32_e32 v207, v207, v206                             // 00000000E050: 279F9DCF
	v_accvgpr_write_b32 a92, v207                              // 00000000E054: D3D9405C 180001CF
	v_accvgpr_read_b32 v207, a108                              // 00000000E05C: D3D840CF 1800016C
	v_cndmask_b32_e32 v207, 0, v207, vcc                       // 00000000E064: 019F9E80
	v_and_b32_e32 v207, v207, v206                             // 00000000E068: 279F9DCF
	v_accvgpr_write_b32 a108, v207                             // 00000000E06C: D3D9406C 180001CF
	s_mov_b32 s54, 0x44                                        // 00000000E074: BEB600FF 00000044
	v_add_i32 v205, s54, v204                                  // 00000000E07C: D29C00CD 00039836
	v_cmp_lt_i32_e64 vcc, v205, 4                              // 00000000E084: D0C1006A 000109CD
	v_min_u32_e32 v205, 4, v205                                // 00000000E08C: 1D9B9A84
	v_lshlrev_b32_e32 v205, 3, v205                            // 00000000E090: 259B9A83
	v_lshrrev_b32_e64 v206, v205, -1                           // 00000000E094: D11000CE 000183CD
	v_accvgpr_read_b32 v207, a93                               // 00000000E09C: D3D840CF 1800015D
	v_cndmask_b32_e32 v207, 0, v207, vcc                       // 00000000E0A4: 019F9E80
	v_and_b32_e32 v207, v207, v206                             // 00000000E0A8: 279F9DCF
	v_accvgpr_write_b32 a93, v207                              // 00000000E0AC: D3D9405D 180001CF
	v_accvgpr_read_b32 v207, a109                              // 00000000E0B4: D3D840CF 1800016D
	v_cndmask_b32_e32 v207, 0, v207, vcc                       // 00000000E0BC: 019F9E80
	v_and_b32_e32 v207, v207, v206                             // 00000000E0C0: 279F9DCF
	v_accvgpr_write_b32 a109, v207                             // 00000000E0C4: D3D9406D 180001CF
	s_mov_b32 s54, 0x48                                        // 00000000E0CC: BEB600FF 00000048
	v_add_i32 v205, s54, v204                                  // 00000000E0D4: D29C00CD 00039836
	v_cmp_lt_i32_e64 vcc, v205, 4                              // 00000000E0DC: D0C1006A 000109CD
	v_min_u32_e32 v205, 4, v205                                // 00000000E0E4: 1D9B9A84
	v_lshlrev_b32_e32 v205, 3, v205                            // 00000000E0E8: 259B9A83
	v_lshrrev_b32_e64 v206, v205, -1                           // 00000000E0EC: D11000CE 000183CD
	v_accvgpr_read_b32 v207, a94                               // 00000000E0F4: D3D840CF 1800015E
	v_cndmask_b32_e32 v207, 0, v207, vcc                       // 00000000E0FC: 019F9E80
	v_and_b32_e32 v207, v207, v206                             // 00000000E100: 279F9DCF
	v_accvgpr_write_b32 a94, v207                              // 00000000E104: D3D9405E 180001CF
	v_accvgpr_read_b32 v207, a110                              // 00000000E10C: D3D840CF 1800016E
	v_cndmask_b32_e32 v207, 0, v207, vcc                       // 00000000E114: 019F9E80
	v_and_b32_e32 v207, v207, v206                             // 00000000E118: 279F9DCF
	v_accvgpr_write_b32 a110, v207                             // 00000000E11C: D3D9406E 180001CF
	s_mov_b32 s54, 0x4c                                        // 00000000E124: BEB600FF 0000004C
	v_add_i32 v205, s54, v204                                  // 00000000E12C: D29C00CD 00039836
	v_cmp_lt_i32_e64 vcc, v205, 4                              // 00000000E134: D0C1006A 000109CD
	v_min_u32_e32 v205, 4, v205                                // 00000000E13C: 1D9B9A84
	v_lshlrev_b32_e32 v205, 3, v205                            // 00000000E140: 259B9A83
	v_lshrrev_b32_e64 v206, v205, -1                           // 00000000E144: D11000CE 000183CD
	v_accvgpr_read_b32 v207, a95                               // 00000000E14C: D3D840CF 1800015F
	v_cndmask_b32_e32 v207, 0, v207, vcc                       // 00000000E154: 019F9E80
	v_and_b32_e32 v207, v207, v206                             // 00000000E158: 279F9DCF
	v_accvgpr_write_b32 a95, v207                              // 00000000E15C: D3D9405F 180001CF
	v_accvgpr_read_b32 v207, a111                              // 00000000E164: D3D840CF 1800016F
	v_cndmask_b32_e32 v207, 0, v207, vcc                       // 00000000E16C: 019F9E80
	v_and_b32_e32 v207, v207, v206                             // 00000000E170: 279F9DCF
	v_accvgpr_write_b32 a111, v207                             // 00000000E174: D3D9406F 180001CF
	s_mov_b32 s54, 0x80                                        // 00000000E17C: BEB600FF 00000080
	v_add_i32 v205, s54, v204                                  // 00000000E184: D29C00CD 00039836
	v_cmp_lt_i32_e64 vcc, v205, 4                              // 00000000E18C: D0C1006A 000109CD
	v_min_u32_e32 v205, 4, v205                                // 00000000E194: 1D9B9A84
	v_lshlrev_b32_e32 v205, 3, v205                            // 00000000E198: 259B9A83
	v_lshrrev_b32_e64 v206, v205, -1                           // 00000000E19C: D11000CE 000183CD
	v_accvgpr_read_b32 v207, a96                               // 00000000E1A4: D3D840CF 18000160
	v_cndmask_b32_e32 v207, 0, v207, vcc                       // 00000000E1AC: 019F9E80
	v_and_b32_e32 v207, v207, v206                             // 00000000E1B0: 279F9DCF
	v_accvgpr_write_b32 a96, v207                              // 00000000E1B4: D3D94060 180001CF
	v_accvgpr_read_b32 v207, a112                              // 00000000E1BC: D3D840CF 18000170
	v_cndmask_b32_e32 v207, 0, v207, vcc                       // 00000000E1C4: 019F9E80
	v_and_b32_e32 v207, v207, v206                             // 00000000E1C8: 279F9DCF
	v_accvgpr_write_b32 a112, v207                             // 00000000E1CC: D3D94070 180001CF
	s_mov_b32 s54, 0x84                                        // 00000000E1D4: BEB600FF 00000084
	v_add_i32 v205, s54, v204                                  // 00000000E1DC: D29C00CD 00039836
	v_cmp_lt_i32_e64 vcc, v205, 4                              // 00000000E1E4: D0C1006A 000109CD
	v_min_u32_e32 v205, 4, v205                                // 00000000E1EC: 1D9B9A84
	v_lshlrev_b32_e32 v205, 3, v205                            // 00000000E1F0: 259B9A83
	v_lshrrev_b32_e64 v206, v205, -1                           // 00000000E1F4: D11000CE 000183CD
	v_accvgpr_read_b32 v207, a97                               // 00000000E1FC: D3D840CF 18000161
	v_cndmask_b32_e32 v207, 0, v207, vcc                       // 00000000E204: 019F9E80
	v_and_b32_e32 v207, v207, v206                             // 00000000E208: 279F9DCF
	v_accvgpr_write_b32 a97, v207                              // 00000000E20C: D3D94061 180001CF
	v_accvgpr_read_b32 v207, a113                              // 00000000E214: D3D840CF 18000171
	v_cndmask_b32_e32 v207, 0, v207, vcc                       // 00000000E21C: 019F9E80
	v_and_b32_e32 v207, v207, v206                             // 00000000E220: 279F9DCF
	v_accvgpr_write_b32 a113, v207                             // 00000000E224: D3D94071 180001CF
	s_mov_b32 s54, 0x88                                        // 00000000E22C: BEB600FF 00000088
	v_add_i32 v205, s54, v204                                  // 00000000E234: D29C00CD 00039836
	v_cmp_lt_i32_e64 vcc, v205, 4                              // 00000000E23C: D0C1006A 000109CD
	v_min_u32_e32 v205, 4, v205                                // 00000000E244: 1D9B9A84
	v_lshlrev_b32_e32 v205, 3, v205                            // 00000000E248: 259B9A83
	v_lshrrev_b32_e64 v206, v205, -1                           // 00000000E24C: D11000CE 000183CD
	v_accvgpr_read_b32 v207, a98                               // 00000000E254: D3D840CF 18000162
	v_cndmask_b32_e32 v207, 0, v207, vcc                       // 00000000E25C: 019F9E80
	v_and_b32_e32 v207, v207, v206                             // 00000000E260: 279F9DCF
	v_accvgpr_write_b32 a98, v207                              // 00000000E264: D3D94062 180001CF
	v_accvgpr_read_b32 v207, a114                              // 00000000E26C: D3D840CF 18000172
	v_cndmask_b32_e32 v207, 0, v207, vcc                       // 00000000E274: 019F9E80
	v_and_b32_e32 v207, v207, v206                             // 00000000E278: 279F9DCF
	v_accvgpr_write_b32 a114, v207                             // 00000000E27C: D3D94072 180001CF
	s_mov_b32 s54, 0x8c                                        // 00000000E284: BEB600FF 0000008C
	v_add_i32 v205, s54, v204                                  // 00000000E28C: D29C00CD 00039836
	v_cmp_lt_i32_e64 vcc, v205, 4                              // 00000000E294: D0C1006A 000109CD
	v_min_u32_e32 v205, 4, v205                                // 00000000E29C: 1D9B9A84
	v_lshlrev_b32_e32 v205, 3, v205                            // 00000000E2A0: 259B9A83
	v_lshrrev_b32_e64 v206, v205, -1                           // 00000000E2A4: D11000CE 000183CD
	v_accvgpr_read_b32 v207, a99                               // 00000000E2AC: D3D840CF 18000163
	v_cndmask_b32_e32 v207, 0, v207, vcc                       // 00000000E2B4: 019F9E80
	v_and_b32_e32 v207, v207, v206                             // 00000000E2B8: 279F9DCF
	v_accvgpr_write_b32 a99, v207                              // 00000000E2BC: D3D94063 180001CF
	v_accvgpr_read_b32 v207, a115                              // 00000000E2C4: D3D840CF 18000173
	v_cndmask_b32_e32 v207, 0, v207, vcc                       // 00000000E2CC: 019F9E80
	v_and_b32_e32 v207, v207, v206                             // 00000000E2D0: 279F9DCF
	v_accvgpr_write_b32 a115, v207                             // 00000000E2D4: D3D94073 180001CF
	s_mov_b32 s54, 0xc0                                        // 00000000E2DC: BEB600FF 000000C0
	v_add_i32 v205, s54, v204                                  // 00000000E2E4: D29C00CD 00039836
	v_cmp_lt_i32_e64 vcc, v205, 4                              // 00000000E2EC: D0C1006A 000109CD
	v_min_u32_e32 v205, 4, v205                                // 00000000E2F4: 1D9B9A84
	v_lshlrev_b32_e32 v205, 3, v205                            // 00000000E2F8: 259B9A83
	v_lshrrev_b32_e64 v206, v205, -1                           // 00000000E2FC: D11000CE 000183CD
	v_accvgpr_read_b32 v207, a100                              // 00000000E304: D3D840CF 18000164
	v_cndmask_b32_e32 v207, 0, v207, vcc                       // 00000000E30C: 019F9E80
	v_and_b32_e32 v207, v207, v206                             // 00000000E310: 279F9DCF
	v_accvgpr_write_b32 a100, v207                             // 00000000E314: D3D94064 180001CF
	v_accvgpr_read_b32 v207, a116                              // 00000000E31C: D3D840CF 18000174
	v_cndmask_b32_e32 v207, 0, v207, vcc                       // 00000000E324: 019F9E80
	v_and_b32_e32 v207, v207, v206                             // 00000000E328: 279F9DCF
	v_accvgpr_write_b32 a116, v207                             // 00000000E32C: D3D94074 180001CF
	s_mov_b32 s54, 0xc4                                        // 00000000E334: BEB600FF 000000C4
	v_add_i32 v205, s54, v204                                  // 00000000E33C: D29C00CD 00039836
	v_cmp_lt_i32_e64 vcc, v205, 4                              // 00000000E344: D0C1006A 000109CD
	v_min_u32_e32 v205, 4, v205                                // 00000000E34C: 1D9B9A84
	v_lshlrev_b32_e32 v205, 3, v205                            // 00000000E350: 259B9A83
	v_lshrrev_b32_e64 v206, v205, -1                           // 00000000E354: D11000CE 000183CD
	v_accvgpr_read_b32 v207, a101                              // 00000000E35C: D3D840CF 18000165
	v_cndmask_b32_e32 v207, 0, v207, vcc                       // 00000000E364: 019F9E80
	v_and_b32_e32 v207, v207, v206                             // 00000000E368: 279F9DCF
	v_accvgpr_write_b32 a101, v207                             // 00000000E36C: D3D94065 180001CF
	v_accvgpr_read_b32 v207, a117                              // 00000000E374: D3D840CF 18000175
	v_cndmask_b32_e32 v207, 0, v207, vcc                       // 00000000E37C: 019F9E80
	v_and_b32_e32 v207, v207, v206                             // 00000000E380: 279F9DCF
	v_accvgpr_write_b32 a117, v207                             // 00000000E384: D3D94075 180001CF
	s_mov_b32 s54, 0xc8                                        // 00000000E38C: BEB600FF 000000C8
	v_add_i32 v205, s54, v204                                  // 00000000E394: D29C00CD 00039836
	v_cmp_lt_i32_e64 vcc, v205, 4                              // 00000000E39C: D0C1006A 000109CD
	v_min_u32_e32 v205, 4, v205                                // 00000000E3A4: 1D9B9A84
	v_lshlrev_b32_e32 v205, 3, v205                            // 00000000E3A8: 259B9A83
	v_lshrrev_b32_e64 v206, v205, -1                           // 00000000E3AC: D11000CE 000183CD
	v_accvgpr_read_b32 v207, a102                              // 00000000E3B4: D3D840CF 18000166
	v_cndmask_b32_e32 v207, 0, v207, vcc                       // 00000000E3BC: 019F9E80
	v_and_b32_e32 v207, v207, v206                             // 00000000E3C0: 279F9DCF
	v_accvgpr_write_b32 a102, v207                             // 00000000E3C4: D3D94066 180001CF
	v_accvgpr_read_b32 v207, a118                              // 00000000E3CC: D3D840CF 18000176
	v_cndmask_b32_e32 v207, 0, v207, vcc                       // 00000000E3D4: 019F9E80
	v_and_b32_e32 v207, v207, v206                             // 00000000E3D8: 279F9DCF
	v_accvgpr_write_b32 a118, v207                             // 00000000E3DC: D3D94076 180001CF
	s_mov_b32 s54, 0xcc                                        // 00000000E3E4: BEB600FF 000000CC
	v_add_i32 v205, s54, v204                                  // 00000000E3EC: D29C00CD 00039836
	v_cmp_lt_i32_e64 vcc, v205, 4                              // 00000000E3F4: D0C1006A 000109CD
	v_min_u32_e32 v205, 4, v205                                // 00000000E3FC: 1D9B9A84
	v_lshlrev_b32_e32 v205, 3, v205                            // 00000000E400: 259B9A83
	v_lshrrev_b32_e64 v206, v205, -1                           // 00000000E404: D11000CE 000183CD
	v_accvgpr_read_b32 v207, a103                              // 00000000E40C: D3D840CF 18000167
	v_cndmask_b32_e32 v207, 0, v207, vcc                       // 00000000E414: 019F9E80
	v_and_b32_e32 v207, v207, v206                             // 00000000E418: 279F9DCF
	v_accvgpr_write_b32 a103, v207                             // 00000000E41C: D3D94067 180001CF
	v_accvgpr_read_b32 v207, a119                              // 00000000E424: D3D840CF 18000177
	v_cndmask_b32_e32 v207, 0, v207, vcc                       // 00000000E42C: 019F9E80
	v_and_b32_e32 v207, v207, v206                             // 00000000E430: 279F9DCF
	v_accvgpr_write_b32 a119, v207                             // 00000000E434: D3D94077 180001CF
	s_waitcnt lgkmcnt(11)                                      // 00000000E43C: BF8CCB7F
	v_mfma_f32_16x16x32_fp8_fp8 v[100:103], a[88:89], v[4:5], 0// 00000000E440: D3F30064 0A020958
	s_lshl_b32 s68, s76, 2                                     // 00000000E448: 8E44824C
	v_mfma_f32_16x16x32_fp8_fp8 v[104:107], a[104:105], v[4:5], 0// 00000000E44C: D3F30068 0A020968
	s_cmp_lt_u32 s76, s77                                      // 00000000E454: BF0A4D4C
	s_cselect_b32 s68, s68, 0                                  // 00000000E458: 85448044
	v_mfma_f32_16x16x32_fp8_fp8 v[100:103], a[90:91], v[6:7], v[100:103]// 00000000E45C: D3F30064 0D920D5A
	buffer_load_dwordx4 a[120:123], v231, s[16:19], 0 offen    // 00000000E464: E05C1000 808478E7
	v_mfma_f32_16x16x32_fp8_fp8 v[104:107], a[106:107], v[6:7], v[104:107]// 00000000E46C: D3F30068 0DA20D6A
	s_addk_i32 s76, 0x1                                        // 00000000E474: B74C0001
	s_waitcnt lgkmcnt(10)                                      // 00000000E478: BF8CCA7F
	v_mfma_f32_16x16x32_fp8_fp8 v[100:103], a[92:93], v[8:9], v[100:103]// 00000000E47C: D3F30064 0D92115C
	v_mfma_f32_16x16x32_fp8_fp8 v[104:107], a[108:109], v[8:9], v[104:107]// 00000000E484: D3F30068 0DA2116C
	v_mfma_f32_16x16x32_fp8_fp8 v[100:103], a[94:95], v[10:11], v[100:103]// 00000000E48C: D3F30064 0D92155E
	buffer_load_dwordx4 a[124:127], v232, s[16:19], 0 offen    // 00000000E494: E05C1000 80847CE8
	v_mfma_f32_16x16x32_fp8_fp8 v[104:107], a[110:111], v[10:11], v[104:107]// 00000000E49C: D3F30068 0DA2156E
	s_waitcnt lgkmcnt(9)                                       // 00000000E4A4: BF8CC97F
	v_mfma_f32_16x16x32_fp8_fp8 v[100:103], a[96:97], v[12:13], v[100:103]// 00000000E4A8: D3F30064 0D921960
	v_mfma_f32_16x16x32_fp8_fp8 v[104:107], a[112:113], v[12:13], v[104:107]// 00000000E4B0: D3F30068 0DA21970
	v_mfma_f32_16x16x32_fp8_fp8 v[100:103], a[98:99], v[14:15], v[100:103]// 00000000E4B8: D3F30064 0D921D62
	buffer_load_dwordx4 a[128:131], v233, s[16:19], 0 offen    // 00000000E4C0: E05C1000 808480E9
	v_mfma_f32_16x16x32_fp8_fp8 v[104:107], a[114:115], v[14:15], v[104:107]// 00000000E4C8: D3F30068 0DA21D72
	s_waitcnt lgkmcnt(8)                                       // 00000000E4D0: BF8CC87F
	v_mfma_f32_16x16x32_fp8_fp8 v[100:103], a[100:101], v[16:17], v[100:103]// 00000000E4D4: D3F30064 0D922164
	v_mfma_f32_16x16x32_fp8_fp8 v[104:107], a[116:117], v[16:17], v[104:107]// 00000000E4DC: D3F30068 0DA22174
	v_mfma_f32_16x16x32_fp8_fp8 v[100:103], a[102:103], v[18:19], v[100:103]// 00000000E4E4: D3F30064 0D922566
	buffer_load_dwordx4 a[132:135], v234, s[16:19], 0 offen    // 00000000E4EC: E05C1000 808484EA
	v_mfma_f32_16x16x32_fp8_fp8 v[104:107], a[118:119], v[18:19], v[104:107]// 00000000E4F4: D3F30068 0DA22576
	s_waitcnt lgkmcnt(7)                                       // 00000000E4FC: BF8CC77F
	v_mfma_f32_16x16x32_fp8_fp8 v[108:111], a[88:89], v[20:21], 0// 00000000E500: D3F3006C 0A022958
	v_mfma_f32_16x16x32_fp8_fp8 v[112:115], a[104:105], v[20:21], 0// 00000000E508: D3F30070 0A022968
	v_mfma_f32_16x16x32_fp8_fp8 v[108:111], a[90:91], v[22:23], v[108:111]// 00000000E510: D3F3006C 0DB22D5A
	buffer_load_dwordx4 a[136:139], v231, s[16:19], 0 offen offset:1024// 00000000E518: E05C1400 808488E7
	v_mfma_f32_16x16x32_fp8_fp8 v[112:115], a[106:107], v[22:23], v[112:115]// 00000000E520: D3F30070 0DC22D6A
	s_waitcnt lgkmcnt(6)                                       // 00000000E528: BF8CC67F
	v_mfma_f32_16x16x32_fp8_fp8 v[108:111], a[92:93], v[24:25], v[108:111]// 00000000E52C: D3F3006C 0DB2315C
	v_mfma_f32_16x16x32_fp8_fp8 v[112:115], a[108:109], v[24:25], v[112:115]// 00000000E534: D3F30070 0DC2316C
	v_mfma_f32_16x16x32_fp8_fp8 v[108:111], a[94:95], v[26:27], v[108:111]// 00000000E53C: D3F3006C 0DB2355E
	buffer_load_dwordx4 a[140:143], v232, s[16:19], 0 offen offset:1024// 00000000E544: E05C1400 80848CE8
	v_mfma_f32_16x16x32_fp8_fp8 v[112:115], a[110:111], v[26:27], v[112:115]// 00000000E54C: D3F30070 0DC2356E
	s_waitcnt lgkmcnt(5)                                       // 00000000E554: BF8CC57F
	v_mfma_f32_16x16x32_fp8_fp8 v[108:111], a[96:97], v[28:29], v[108:111]// 00000000E558: D3F3006C 0DB23960
	v_mfma_f32_16x16x32_fp8_fp8 v[112:115], a[112:113], v[28:29], v[112:115]// 00000000E560: D3F30070 0DC23970
	v_mfma_f32_16x16x32_fp8_fp8 v[108:111], a[98:99], v[30:31], v[108:111]// 00000000E568: D3F3006C 0DB23D62
	buffer_load_dwordx4 a[144:147], v233, s[16:19], 0 offen offset:1024// 00000000E570: E05C1400 808490E9
	v_mfma_f32_16x16x32_fp8_fp8 v[112:115], a[114:115], v[30:31], v[112:115]// 00000000E578: D3F30070 0DC23D72
	s_waitcnt lgkmcnt(4)                                       // 00000000E580: BF8CC47F
	v_mfma_f32_16x16x32_fp8_fp8 v[108:111], a[100:101], v[32:33], v[108:111]// 00000000E584: D3F3006C 0DB24164
	v_mfma_f32_16x16x32_fp8_fp8 v[112:115], a[116:117], v[32:33], v[112:115]// 00000000E58C: D3F30070 0DC24174
	v_mfma_f32_16x16x32_fp8_fp8 v[108:111], a[102:103], v[34:35], v[108:111]// 00000000E594: D3F3006C 0DB24566
	buffer_load_dwordx4 a[148:151], v234, s[16:19], 0 offen offset:1024// 00000000E59C: E05C1400 808494EA
	v_mfma_f32_16x16x32_fp8_fp8 v[112:115], a[118:119], v[34:35], v[112:115]// 00000000E5A4: D3F30070 0DC24576
	s_waitcnt lgkmcnt(3)                                       // 00000000E5AC: BF8CC37F
	v_mfma_f32_16x16x32_fp8_fp8 v[116:119], a[88:89], v[36:37], 0// 00000000E5B0: D3F30074 0A024958
	v_mfma_f32_16x16x32_fp8_fp8 v[120:123], a[104:105], v[36:37], 0// 00000000E5B8: D3F30078 0A024968
	v_mfma_f32_16x16x32_fp8_fp8 v[116:119], a[90:91], v[38:39], v[116:119]// 00000000E5C0: D3F30074 0DD24D5A
	v_mfma_f32_16x16x32_fp8_fp8 v[120:123], a[106:107], v[38:39], v[120:123]// 00000000E5C8: D3F30078 0DE24D6A
	s_waitcnt lgkmcnt(2)                                       // 00000000E5D0: BF8CC27F
	v_mfma_f32_16x16x32_fp8_fp8 v[116:119], a[92:93], v[40:41], v[116:119]// 00000000E5D4: D3F30074 0DD2515C
	v_mfma_f32_16x16x32_fp8_fp8 v[120:123], a[108:109], v[40:41], v[120:123]// 00000000E5DC: D3F30078 0DE2516C
	v_mfma_f32_16x16x32_fp8_fp8 v[116:119], a[94:95], v[42:43], v[116:119]// 00000000E5E4: D3F30074 0DD2555E
	v_mfma_f32_16x16x32_fp8_fp8 v[120:123], a[110:111], v[42:43], v[120:123]// 00000000E5EC: D3F30078 0DE2556E
	s_waitcnt lgkmcnt(1)                                       // 00000000E5F4: BF8CC17F
	v_mfma_f32_16x16x32_fp8_fp8 v[116:119], a[96:97], v[44:45], v[116:119]// 00000000E5F8: D3F30074 0DD25960
	v_mfma_f32_16x16x32_fp8_fp8 v[120:123], a[112:113], v[44:45], v[120:123]// 00000000E600: D3F30078 0DE25970
	v_mfma_f32_16x16x32_fp8_fp8 v[116:119], a[98:99], v[46:47], v[116:119]// 00000000E608: D3F30074 0DD25D62
	v_mfma_f32_16x16x32_fp8_fp8 v[120:123], a[114:115], v[46:47], v[120:123]// 00000000E610: D3F30078 0DE25D72
	s_waitcnt lgkmcnt(0)                                       // 00000000E618: BF8CC07F
	v_mfma_f32_16x16x32_fp8_fp8 v[116:119], a[100:101], v[48:49], v[116:119]// 00000000E61C: D3F30074 0DD26164
	v_mfma_f32_16x16x32_fp8_fp8 v[120:123], a[116:117], v[48:49], v[120:123]// 00000000E624: D3F30078 0DE26174
	v_mfma_f32_16x16x32_fp8_fp8 v[116:119], a[102:103], v[50:51], v[116:119]// 00000000E62C: D3F30074 0DD26566
	v_mfma_f32_16x16x32_fp8_fp8 v[120:123], a[118:119], v[50:51], v[120:123]// 00000000E634: D3F30078 0DE26576
	s_load_dword s59, s[42:43], s68                            // 00000000E63C: C0000ED5 00000044
	s_addk_i32 s64, 0x100                                      // 00000000E644: B7400100

000000000000e648 <label_2F92>:
	s_cmp_lt_i32 s64, s62                                      // 00000000E648: BF043E40
	s_cbranch_scc0 label_465C                                  // 00000000E64C: BF8416C8
	s_waitcnt vmcnt(10)                                        // 00000000E650: BF8C0F7A
	v_mfma_f32_16x16x32_fp8_fp8 v[4:7], a[56:57], a[0:1], 0    // 00000000E654: D3F30004 1A020138
	s_add_u32 s12, s86, s69                                    // 00000000E65C: 800C4556
	s_addc_u32 s13, s87, 0                                     // 00000000E660: 820D8057
	v_mfma_f32_16x16x32_fp8_fp8 v[4:7], a[58:59], a[2:3], v[4:7]// 00000000E664: D3F30004 1C12053A
	s_add_u32 s16, s88, s70                                    // 00000000E66C: 80104658
	s_addc_u32 s17, s89, 0                                     // 00000000E670: 82118059
	v_mfma_f32_16x16x32_fp8_fp8 v[4:7], a[60:61], a[4:5], v[4:7]// 00000000E674: D3F30004 1C12093C
	buffer_load_dwordx4 a[24:27], v229, s[12:15], 0 offen      // 00000000E67C: E05C1000 808318E5
	v_mfma_f32_16x16x32_fp8_fp8 v[4:7], a[62:63], a[6:7], v[4:7]// 00000000E684: D3F30004 1C120D3E
	s_add_u32 s20, s90, s71                                    // 00000000E68C: 8014475A
	s_addc_u32 s21, s91, 0                                     // 00000000E690: 8215805B
	v_mfma_f32_16x16x32_fp8_fp8 v[8:11], a[64:65], a[0:1], 0   // 00000000E694: D3F30008 1A020140
	s_add_u32 s24, s92, s71                                    // 00000000E69C: 8018475C
	s_addc_u32 s25, s93, 0                                     // 00000000E6A0: 8219805D
	v_mfma_f32_16x16x32_fp8_fp8 v[8:11], a[66:67], a[2:3], v[8:11]// 00000000E6A4: D3F30008 1C220542
	s_add_u32 s69, s69, 0x1000                                 // 00000000E6AC: 8045FF45 00001000
	s_add_u32 s70, s70, 0x8000                                 // 00000000E6B4: 8046FF46 00008000
	v_mfma_f32_16x16x32_fp8_fp8 v[8:11], a[68:69], a[4:5], v[8:11]// 00000000E6BC: D3F30008 1C220944
	buffer_load_dwordx4 a[28:31], v230, s[12:15], 0 offen      // 00000000E6C4: E05C1000 80831CE6
	v_mfma_f32_16x16x32_fp8_fp8 v[8:11], a[70:71], a[6:7], v[8:11]// 00000000E6CC: D3F30008 1C220D46
	s_add_u32 s71, s71, 0x400                                  // 00000000E6D4: 8047FF47 00000400
	v_mfma_f32_16x16x32_fp8_fp8 v[12:15], a[72:73], a[0:1], 0  // 00000000E6DC: D3F3000C 1A020148
	v_mfma_f32_16x16x32_fp8_fp8 v[12:15], a[74:75], a[2:3], v[12:15]// 00000000E6E4: D3F3000C 1C32054A
	v_mfma_f32_16x16x32_fp8_fp8 v[12:15], a[76:77], a[4:5], v[12:15]// 00000000E6EC: D3F3000C 1C32094C
	buffer_load_dwordx4 a[32:35], v229, s[12:15], 0 offen offset:1024// 00000000E6F4: E05C1400 808320E5
	v_mfma_f32_16x16x32_fp8_fp8 v[12:15], a[78:79], a[6:7], v[12:15]// 00000000E6FC: D3F3000C 1C320D4E
	v_mfma_f32_16x16x32_fp8_fp8 v[16:19], a[80:81], a[0:1], 0  // 00000000E704: D3F30010 1A020150
	v_mfma_f32_16x16x32_fp8_fp8 v[16:19], a[82:83], a[2:3], v[16:19]// 00000000E70C: D3F30010 1C420552
	v_mfma_f32_16x16x32_fp8_fp8 v[16:19], a[84:85], a[4:5], v[16:19]// 00000000E714: D3F30010 1C420954
	buffer_load_dwordx4 a[36:39], v230, s[12:15], 0 offen offset:1024// 00000000E71C: E05C1400 808324E6
	v_mfma_f32_16x16x32_fp8_fp8 v[16:19], a[86:87], a[6:7], v[16:19]// 00000000E724: D3F30010 1C420D56
	v_mfma_f32_16x16x32_fp8_fp8 v[20:23], a[56:57], a[8:9], 0  // 00000000E72C: D3F30014 1A021138
	v_mfma_f32_16x16x32_fp8_fp8 v[20:23], a[58:59], a[10:11], v[20:23]// 00000000E734: D3F30014 1C52153A
	v_mfma_f32_16x16x32_fp8_fp8 v[20:23], a[60:61], a[12:13], v[20:23]// 00000000E73C: D3F30014 1C52193C
	buffer_load_dwordx4 a[40:43], v229, s[12:15], 0 offen offset:2048// 00000000E744: E05C1800 808328E5
	v_mfma_f32_16x16x32_fp8_fp8 v[20:23], a[62:63], a[14:15], v[20:23]// 00000000E74C: D3F30014 1C521D3E
	v_mfma_f32_16x16x32_fp8_fp8 v[24:27], a[64:65], a[8:9], 0  // 00000000E754: D3F30018 1A021140
	v_mfma_f32_16x16x32_fp8_fp8 v[24:27], a[66:67], a[10:11], v[24:27]// 00000000E75C: D3F30018 1C621542
	v_mfma_f32_16x16x32_fp8_fp8 v[24:27], a[68:69], a[12:13], v[24:27]// 00000000E764: D3F30018 1C621944
	buffer_load_dwordx4 a[44:47], v230, s[12:15], 0 offen offset:2048// 00000000E76C: E05C1800 80832CE6
	v_mfma_f32_16x16x32_fp8_fp8 v[24:27], a[70:71], a[14:15], v[24:27]// 00000000E774: D3F30018 1C621D46
	v_mfma_f32_16x16x32_fp8_fp8 v[28:31], a[72:73], a[8:9], 0  // 00000000E77C: D3F3001C 1A021148
	v_mfma_f32_16x16x32_fp8_fp8 v[28:31], a[74:75], a[10:11], v[28:31]// 00000000E784: D3F3001C 1C72154A
	v_mfma_f32_16x16x32_fp8_fp8 v[28:31], a[76:77], a[12:13], v[28:31]// 00000000E78C: D3F3001C 1C72194C
	buffer_load_dwordx4 a[48:51], v229, s[12:15], 0 offen offset:3072// 00000000E794: E05C1C00 808330E5
	v_mfma_f32_16x16x32_fp8_fp8 v[28:31], a[78:79], a[14:15], v[28:31]// 00000000E79C: D3F3001C 1C721D4E
	v_mfma_f32_16x16x32_fp8_fp8 v[32:35], a[80:81], a[8:9], 0  // 00000000E7A4: D3F30020 1A021150
	v_mfma_f32_16x16x32_fp8_fp8 v[32:35], a[82:83], a[10:11], v[32:35]// 00000000E7AC: D3F30020 1C821552
	v_mfma_f32_16x16x32_fp8_fp8 v[32:35], a[84:85], a[12:13], v[32:35]// 00000000E7B4: D3F30020 1C821954
	buffer_load_dwordx4 a[52:55], v230, s[12:15], 0 offen offset:3072// 00000000E7BC: E05C1C00 808334E6
	v_mfma_f32_16x16x32_fp8_fp8 v[32:35], a[86:87], a[14:15], v[32:35]// 00000000E7C4: D3F30020 1C821D56
	v_mfma_f32_16x16x32_fp8_fp8 v[36:39], a[56:57], a[16:17], 0// 00000000E7CC: D3F30024 1A022138
	v_mfma_f32_16x16x32_fp8_fp8 v[36:39], a[58:59], a[18:19], v[36:39]// 00000000E7D4: D3F30024 1C92253A
	v_mfma_f32_16x16x32_fp8_fp8 v[36:39], a[60:61], a[20:21], v[36:39]// 00000000E7DC: D3F30024 1C92293C
	v_mfma_f32_16x16x32_fp8_fp8 v[36:39], a[62:63], a[22:23], v[36:39]// 00000000E7E4: D3F30024 1C922D3E
	v_mfma_f32_16x16x32_fp8_fp8 v[40:43], a[64:65], a[16:17], 0// 00000000E7EC: D3F30028 1A022140
	v_mfma_f32_16x16x32_fp8_fp8 v[40:43], a[66:67], a[18:19], v[40:43]// 00000000E7F4: D3F30028 1CA22542
	v_mfma_f32_16x16x32_fp8_fp8 v[40:43], a[68:69], a[20:21], v[40:43]// 00000000E7FC: D3F30028 1CA22944
	v_mfma_f32_16x16x32_fp8_fp8 v[40:43], a[70:71], a[22:23], v[40:43]// 00000000E804: D3F30028 1CA22D46
	v_mfma_f32_16x16x32_fp8_fp8 v[44:47], a[72:73], a[16:17], 0// 00000000E80C: D3F3002C 1A022148
	v_mfma_f32_16x16x32_fp8_fp8 v[44:47], a[74:75], a[18:19], v[44:47]// 00000000E814: D3F3002C 1CB2254A
	v_mfma_f32_16x16x32_fp8_fp8 v[44:47], a[76:77], a[20:21], v[44:47]// 00000000E81C: D3F3002C 1CB2294C
	v_mfma_f32_16x16x32_fp8_fp8 v[44:47], a[78:79], a[22:23], v[44:47]// 00000000E824: D3F3002C 1CB22D4E
	v_mfma_f32_16x16x32_fp8_fp8 v[48:51], a[80:81], a[16:17], 0// 00000000E82C: D3F30030 1A022150
	v_mfma_f32_16x16x32_fp8_fp8 v[48:51], a[82:83], a[18:19], v[48:51]// 00000000E834: D3F30030 1CC22552
	v_mfma_f32_16x16x32_fp8_fp8 v[48:51], a[84:85], a[20:21], v[48:51]// 00000000E83C: D3F30030 1CC22954
	v_mfma_f32_16x16x32_fp8_fp8 v[48:51], a[86:87], a[22:23], v[48:51]// 00000000E844: D3F30030 1CC22D56
	s_waitcnt vmcnt(16)                                        // 00000000E84C: BF8C4F70
	v_pk_mul_f32 v[4:5], v[148:149], v[4:5]                    // 00000000E850: D3B14004 18020994
	v_pk_mul_f32 v[6:7], v[148:149], v[6:7]                    // 00000000E858: D3B14006 18020D94
	v_mul_f32_dpp v4, v155, v4 row_newbcast:0 row_mask:0xf bank_mask:0xf// 00000000E860: 0A0808FA FF01509B
	v_mul_f32_dpp v5, v155, v5 row_newbcast:1 row_mask:0xf bank_mask:0xf// 00000000E868: 0A0A0AFA FF01519B
	v_mul_f32_dpp v6, v155, v6 row_newbcast:2 row_mask:0xf bank_mask:0xf// 00000000E870: 0A0C0CFA FF01529B
	v_mul_f32_dpp v7, v155, v7 row_newbcast:3 row_mask:0xf bank_mask:0xf// 00000000E878: 0A0E0EFA FF01539B
	v_pk_mul_f32 v[8:9], v[148:149], v[8:9]                    // 00000000E880: D3B14008 18021194
	v_pk_mul_f32 v[10:11], v[148:149], v[10:11]                // 00000000E888: D3B1400A 18021594
	v_mul_f32_dpp v8, v155, v8 row_newbcast:4 row_mask:0xf bank_mask:0xf// 00000000E890: 0A1010FA FF01549B
	v_mul_f32_dpp v9, v155, v9 row_newbcast:5 row_mask:0xf bank_mask:0xf// 00000000E898: 0A1212FA FF01559B
	v_mul_f32_dpp v10, v155, v10 row_newbcast:6 row_mask:0xf bank_mask:0xf// 00000000E8A0: 0A1414FA FF01569B
	v_mul_f32_dpp v11, v155, v11 row_newbcast:7 row_mask:0xf bank_mask:0xf// 00000000E8A8: 0A1616FA FF01579B
	v_pk_mul_f32 v[12:13], v[148:149], v[12:13]                // 00000000E8B0: D3B1400C 18021994
	v_pk_mul_f32 v[14:15], v[148:149], v[14:15]                // 00000000E8B8: D3B1400E 18021D94
	v_mul_f32_dpp v12, v155, v12 row_newbcast:8 row_mask:0xf bank_mask:0xf// 00000000E8C0: 0A1818FA FF01589B
	v_mul_f32_dpp v13, v155, v13 row_newbcast:9 row_mask:0xf bank_mask:0xf// 00000000E8C8: 0A1A1AFA FF01599B
	v_mul_f32_dpp v14, v155, v14 row_newbcast:10 row_mask:0xf bank_mask:0xf// 00000000E8D0: 0A1C1CFA FF015A9B
	v_mul_f32_dpp v15, v155, v15 row_newbcast:11 row_mask:0xf bank_mask:0xf// 00000000E8D8: 0A1E1EFA FF015B9B
	v_pk_mul_f32 v[16:17], v[148:149], v[16:17]                // 00000000E8E0: D3B14010 18022194
	v_pk_mul_f32 v[18:19], v[148:149], v[18:19]                // 00000000E8E8: D3B14012 18022594
	v_mul_f32_dpp v16, v155, v16 row_newbcast:12 row_mask:0xf bank_mask:0xf// 00000000E8F0: 0A2020FA FF015C9B
	v_mul_f32_dpp v17, v155, v17 row_newbcast:13 row_mask:0xf bank_mask:0xf// 00000000E8F8: 0A2222FA FF015D9B
	v_mul_f32_dpp v18, v155, v18 row_newbcast:14 row_mask:0xf bank_mask:0xf// 00000000E900: 0A2424FA FF015E9B
	v_mul_f32_dpp v19, v155, v19 row_newbcast:15 row_mask:0xf bank_mask:0xf// 00000000E908: 0A2626FA FF015F9B
	v_pk_mul_f32 v[20:21], v[150:151], v[20:21]                // 00000000E910: D3B14014 18022996
	v_pk_mul_f32 v[22:23], v[150:151], v[22:23]                // 00000000E918: D3B14016 18022D96
	v_mul_f32_dpp v20, v155, v20 row_newbcast:0 row_mask:0xf bank_mask:0xf// 00000000E920: 0A2828FA FF01509B
	v_mul_f32_dpp v21, v155, v21 row_newbcast:1 row_mask:0xf bank_mask:0xf// 00000000E928: 0A2A2AFA FF01519B
	v_mul_f32_dpp v22, v155, v22 row_newbcast:2 row_mask:0xf bank_mask:0xf// 00000000E930: 0A2C2CFA FF01529B
	v_mul_f32_dpp v23, v155, v23 row_newbcast:3 row_mask:0xf bank_mask:0xf// 00000000E938: 0A2E2EFA FF01539B
	v_pk_mul_f32 v[24:25], v[150:151], v[24:25]                // 00000000E940: D3B14018 18023196
	v_pk_mul_f32 v[26:27], v[150:151], v[26:27]                // 00000000E948: D3B1401A 18023596
	v_mul_f32_dpp v24, v155, v24 row_newbcast:4 row_mask:0xf bank_mask:0xf// 00000000E950: 0A3030FA FF01549B
	v_mul_f32_dpp v25, v155, v25 row_newbcast:5 row_mask:0xf bank_mask:0xf// 00000000E958: 0A3232FA FF01559B
	v_mul_f32_dpp v26, v155, v26 row_newbcast:6 row_mask:0xf bank_mask:0xf// 00000000E960: 0A3434FA FF01569B
	v_mul_f32_dpp v27, v155, v27 row_newbcast:7 row_mask:0xf bank_mask:0xf// 00000000E968: 0A3636FA FF01579B
	v_pk_mul_f32 v[28:29], v[150:151], v[28:29]                // 00000000E970: D3B1401C 18023996
	v_pk_mul_f32 v[30:31], v[150:151], v[30:31]                // 00000000E978: D3B1401E 18023D96
	v_mul_f32_dpp v28, v155, v28 row_newbcast:8 row_mask:0xf bank_mask:0xf// 00000000E980: 0A3838FA FF01589B
	v_mul_f32_dpp v29, v155, v29 row_newbcast:9 row_mask:0xf bank_mask:0xf// 00000000E988: 0A3A3AFA FF01599B
	v_mul_f32_dpp v30, v155, v30 row_newbcast:10 row_mask:0xf bank_mask:0xf// 00000000E990: 0A3C3CFA FF015A9B
	v_mul_f32_dpp v31, v155, v31 row_newbcast:11 row_mask:0xf bank_mask:0xf// 00000000E998: 0A3E3EFA FF015B9B
	v_pk_mul_f32 v[32:33], v[150:151], v[32:33]                // 00000000E9A0: D3B14020 18024196
	v_pk_mul_f32 v[34:35], v[150:151], v[34:35]                // 00000000E9A8: D3B14022 18024596
	v_mul_f32_dpp v32, v155, v32 row_newbcast:12 row_mask:0xf bank_mask:0xf// 00000000E9B0: 0A4040FA FF015C9B
	v_mul_f32_dpp v33, v155, v33 row_newbcast:13 row_mask:0xf bank_mask:0xf// 00000000E9B8: 0A4242FA FF015D9B
	v_mul_f32_dpp v34, v155, v34 row_newbcast:14 row_mask:0xf bank_mask:0xf// 00000000E9C0: 0A4444FA FF015E9B
	v_mul_f32_dpp v35, v155, v35 row_newbcast:15 row_mask:0xf bank_mask:0xf// 00000000E9C8: 0A4646FA FF015F9B
	v_pk_mul_f32 v[36:37], v[152:153], v[36:37]                // 00000000E9D0: D3B14024 18024998
	v_pk_mul_f32 v[38:39], v[152:153], v[38:39]                // 00000000E9D8: D3B14026 18024D98
	v_mul_f32_dpp v36, v155, v36 row_newbcast:0 row_mask:0xf bank_mask:0xf// 00000000E9E0: 0A4848FA FF01509B
	v_mul_f32_dpp v37, v155, v37 row_newbcast:1 row_mask:0xf bank_mask:0xf// 00000000E9E8: 0A4A4AFA FF01519B
	v_mul_f32_dpp v38, v155, v38 row_newbcast:2 row_mask:0xf bank_mask:0xf// 00000000E9F0: 0A4C4CFA FF01529B
	v_mul_f32_dpp v39, v155, v39 row_newbcast:3 row_mask:0xf bank_mask:0xf// 00000000E9F8: 0A4E4EFA FF01539B
	v_pk_mul_f32 v[40:41], v[152:153], v[40:41]                // 00000000EA00: D3B14028 18025198
	v_pk_mul_f32 v[42:43], v[152:153], v[42:43]                // 00000000EA08: D3B1402A 18025598
	v_mul_f32_dpp v40, v155, v40 row_newbcast:4 row_mask:0xf bank_mask:0xf// 00000000EA10: 0A5050FA FF01549B
	v_mul_f32_dpp v41, v155, v41 row_newbcast:5 row_mask:0xf bank_mask:0xf// 00000000EA18: 0A5252FA FF01559B
	v_mul_f32_dpp v42, v155, v42 row_newbcast:6 row_mask:0xf bank_mask:0xf// 00000000EA20: 0A5454FA FF01569B
	v_mul_f32_dpp v43, v155, v43 row_newbcast:7 row_mask:0xf bank_mask:0xf// 00000000EA28: 0A5656FA FF01579B
	v_pk_mul_f32 v[44:45], v[152:153], v[44:45]                // 00000000EA30: D3B1402C 18025998
	v_pk_mul_f32 v[46:47], v[152:153], v[46:47]                // 00000000EA38: D3B1402E 18025D98
	v_mul_f32_dpp v44, v155, v44 row_newbcast:8 row_mask:0xf bank_mask:0xf// 00000000EA40: 0A5858FA FF01589B
	v_mul_f32_dpp v45, v155, v45 row_newbcast:9 row_mask:0xf bank_mask:0xf// 00000000EA48: 0A5A5AFA FF01599B
	v_mul_f32_dpp v46, v155, v46 row_newbcast:10 row_mask:0xf bank_mask:0xf// 00000000EA50: 0A5C5CFA FF015A9B
	v_mul_f32_dpp v47, v155, v47 row_newbcast:11 row_mask:0xf bank_mask:0xf// 00000000EA58: 0A5E5EFA FF015B9B
	v_pk_mul_f32 v[48:49], v[152:153], v[48:49]                // 00000000EA60: D3B14030 18026198
	v_pk_mul_f32 v[50:51], v[152:153], v[50:51]                // 00000000EA68: D3B14032 18026598
	v_mul_f32_dpp v48, v155, v48 row_newbcast:12 row_mask:0xf bank_mask:0xf// 00000000EA70: 0A6060FA FF015C9B
	v_mul_f32_dpp v49, v155, v49 row_newbcast:13 row_mask:0xf bank_mask:0xf// 00000000EA78: 0A6262FA FF015D9B
	v_mul_f32_dpp v50, v155, v50 row_newbcast:14 row_mask:0xf bank_mask:0xf// 00000000EA80: 0A6464FA FF015E9B
	v_mul_f32_dpp v51, v155, v51 row_newbcast:15 row_mask:0xf bank_mask:0xf// 00000000EA88: 0A6666FA FF015F9B
	v_add_u32_e32 v204, s64, v221                              // 00000000EA90: 6999BA40
	v_add_u32_e32 v205, 0, v204                                // 00000000EA94: 699B9880
	v_cmp_lt_u32_e64 s[98:99], v205, v218                      // 00000000EA98: D0C90062 0003B5CD
	s_nop 0                                                    // 00000000EAA0: BF800000
	v_cndmask_b32_e64 v4, v222, v4, s[98:99]                   // 00000000EAA4: D1000004 018A09DE
	v_add_u32_e32 v205, 1, v204                                // 00000000EAAC: 699B9881
	v_cmp_lt_u32_e64 s[98:99], v205, v218                      // 00000000EAB0: D0C90062 0003B5CD
	s_nop 0                                                    // 00000000EAB8: BF800000
	v_cndmask_b32_e64 v5, v222, v5, s[98:99]                   // 00000000EABC: D1000005 018A0BDE
	v_add_u32_e32 v205, 2, v204                                // 00000000EAC4: 699B9882
	v_cmp_lt_u32_e64 s[98:99], v205, v218                      // 00000000EAC8: D0C90062 0003B5CD
	s_nop 0                                                    // 00000000EAD0: BF800000
	v_cndmask_b32_e64 v6, v222, v6, s[98:99]                   // 00000000EAD4: D1000006 018A0DDE
	v_add_u32_e32 v205, 3, v204                                // 00000000EADC: 699B9883
	v_cmp_lt_u32_e64 s[98:99], v205, v218                      // 00000000EAE0: D0C90062 0003B5CD
	s_nop 0                                                    // 00000000EAE8: BF800000
	v_cndmask_b32_e64 v7, v222, v7, s[98:99]                   // 00000000EAEC: D1000007 018A0FDE
	v_add_u32_e32 v205, 64, v204                               // 00000000EAF4: 699B98C0
	v_cmp_lt_u32_e64 s[98:99], v205, v218                      // 00000000EAF8: D0C90062 0003B5CD
	s_nop 0                                                    // 00000000EB00: BF800000
	v_cndmask_b32_e64 v8, v222, v8, s[98:99]                   // 00000000EB04: D1000008 018A11DE
	v_add_u32_e32 v205, 0x41, v204                             // 00000000EB0C: 699B98FF 00000041
	v_cmp_lt_u32_e64 s[98:99], v205, v218                      // 00000000EB14: D0C90062 0003B5CD
	s_nop 0                                                    // 00000000EB1C: BF800000
	v_cndmask_b32_e64 v9, v222, v9, s[98:99]                   // 00000000EB20: D1000009 018A13DE
	v_add_u32_e32 v205, 0x42, v204                             // 00000000EB28: 699B98FF 00000042
	v_cmp_lt_u32_e64 s[98:99], v205, v218                      // 00000000EB30: D0C90062 0003B5CD
	s_nop 0                                                    // 00000000EB38: BF800000
	v_cndmask_b32_e64 v10, v222, v10, s[98:99]                 // 00000000EB3C: D100000A 018A15DE
	v_add_u32_e32 v205, 0x43, v204                             // 00000000EB44: 699B98FF 00000043
	v_cmp_lt_u32_e64 s[98:99], v205, v218                      // 00000000EB4C: D0C90062 0003B5CD
	s_nop 0                                                    // 00000000EB54: BF800000
	v_cndmask_b32_e64 v11, v222, v11, s[98:99]                 // 00000000EB58: D100000B 018A17DE
	v_add_u32_e32 v205, 0x80, v204                             // 00000000EB60: 699B98FF 00000080
	v_cmp_lt_u32_e64 s[98:99], v205, v218                      // 00000000EB68: D0C90062 0003B5CD
	s_nop 0                                                    // 00000000EB70: BF800000
	v_cndmask_b32_e64 v12, v222, v12, s[98:99]                 // 00000000EB74: D100000C 018A19DE
	v_add_u32_e32 v205, 0x81, v204                             // 00000000EB7C: 699B98FF 00000081
	v_cmp_lt_u32_e64 s[98:99], v205, v218                      // 00000000EB84: D0C90062 0003B5CD
	s_nop 0                                                    // 00000000EB8C: BF800000
	v_cndmask_b32_e64 v13, v222, v13, s[98:99]                 // 00000000EB90: D100000D 018A1BDE
	v_add_u32_e32 v205, 0x82, v204                             // 00000000EB98: 699B98FF 00000082
	v_cmp_lt_u32_e64 s[98:99], v205, v218                      // 00000000EBA0: D0C90062 0003B5CD
	s_nop 0                                                    // 00000000EBA8: BF800000
	v_cndmask_b32_e64 v14, v222, v14, s[98:99]                 // 00000000EBAC: D100000E 018A1DDE
	v_add_u32_e32 v205, 0x83, v204                             // 00000000EBB4: 699B98FF 00000083
	v_cmp_lt_u32_e64 s[98:99], v205, v218                      // 00000000EBBC: D0C90062 0003B5CD
	s_nop 0                                                    // 00000000EBC4: BF800000
	v_cndmask_b32_e64 v15, v222, v15, s[98:99]                 // 00000000EBC8: D100000F 018A1FDE
	v_add_u32_e32 v205, 0xc0, v204                             // 00000000EBD0: 699B98FF 000000C0
	v_cmp_lt_u32_e64 s[98:99], v205, v218                      // 00000000EBD8: D0C90062 0003B5CD
	s_nop 0                                                    // 00000000EBE0: BF800000
	v_cndmask_b32_e64 v16, v222, v16, s[98:99]                 // 00000000EBE4: D1000010 018A21DE
	v_add_u32_e32 v205, 0xc1, v204                             // 00000000EBEC: 699B98FF 000000C1
	v_cmp_lt_u32_e64 s[98:99], v205, v218                      // 00000000EBF4: D0C90062 0003B5CD
	s_nop 0                                                    // 00000000EBFC: BF800000
	v_cndmask_b32_e64 v17, v222, v17, s[98:99]                 // 00000000EC00: D1000011 018A23DE
	v_add_u32_e32 v205, 0xc2, v204                             // 00000000EC08: 699B98FF 000000C2
	v_cmp_lt_u32_e64 s[98:99], v205, v218                      // 00000000EC10: D0C90062 0003B5CD
	s_nop 0                                                    // 00000000EC18: BF800000
	v_cndmask_b32_e64 v18, v222, v18, s[98:99]                 // 00000000EC1C: D1000012 018A25DE
	v_add_u32_e32 v205, 0xc3, v204                             // 00000000EC24: 699B98FF 000000C3
	v_cmp_lt_u32_e64 s[98:99], v205, v218                      // 00000000EC2C: D0C90062 0003B5CD
	s_nop 0                                                    // 00000000EC34: BF800000
	v_cndmask_b32_e64 v19, v222, v19, s[98:99]                 // 00000000EC38: D1000013 018A27DE
	v_add_u32_e32 v205, 0, v204                                // 00000000EC40: 699B9880
	v_cmp_lt_u32_e64 s[98:99], v205, v219                      // 00000000EC44: D0C90062 0003B7CD
	s_nop 0                                                    // 00000000EC4C: BF800000
	v_cndmask_b32_e64 v20, v222, v20, s[98:99]                 // 00000000EC50: D1000014 018A29DE
	v_add_u32_e32 v205, 1, v204                                // 00000000EC58: 699B9881
	v_cmp_lt_u32_e64 s[98:99], v205, v219                      // 00000000EC5C: D0C90062 0003B7CD
	s_nop 0                                                    // 00000000EC64: BF800000
	v_cndmask_b32_e64 v21, v222, v21, s[98:99]                 // 00000000EC68: D1000015 018A2BDE
	v_add_u32_e32 v205, 2, v204                                // 00000000EC70: 699B9882
	v_cmp_lt_u32_e64 s[98:99], v205, v219                      // 00000000EC74: D0C90062 0003B7CD
	s_nop 0                                                    // 00000000EC7C: BF800000
	v_cndmask_b32_e64 v22, v222, v22, s[98:99]                 // 00000000EC80: D1000016 018A2DDE
	v_add_u32_e32 v205, 3, v204                                // 00000000EC88: 699B9883
	v_cmp_lt_u32_e64 s[98:99], v205, v219                      // 00000000EC8C: D0C90062 0003B7CD
	s_nop 0                                                    // 00000000EC94: BF800000
	v_cndmask_b32_e64 v23, v222, v23, s[98:99]                 // 00000000EC98: D1000017 018A2FDE
	v_add_u32_e32 v205, 64, v204                               // 00000000ECA0: 699B98C0
	v_cmp_lt_u32_e64 s[98:99], v205, v219                      // 00000000ECA4: D0C90062 0003B7CD
	s_nop 0                                                    // 00000000ECAC: BF800000
	v_cndmask_b32_e64 v24, v222, v24, s[98:99]                 // 00000000ECB0: D1000018 018A31DE
	v_add_u32_e32 v205, 0x41, v204                             // 00000000ECB8: 699B98FF 00000041
	v_cmp_lt_u32_e64 s[98:99], v205, v219                      // 00000000ECC0: D0C90062 0003B7CD
	s_nop 0                                                    // 00000000ECC8: BF800000
	v_cndmask_b32_e64 v25, v222, v25, s[98:99]                 // 00000000ECCC: D1000019 018A33DE
	v_add_u32_e32 v205, 0x42, v204                             // 00000000ECD4: 699B98FF 00000042
	v_cmp_lt_u32_e64 s[98:99], v205, v219                      // 00000000ECDC: D0C90062 0003B7CD
	s_nop 0                                                    // 00000000ECE4: BF800000
	v_cndmask_b32_e64 v26, v222, v26, s[98:99]                 // 00000000ECE8: D100001A 018A35DE
	v_add_u32_e32 v205, 0x43, v204                             // 00000000ECF0: 699B98FF 00000043
	v_cmp_lt_u32_e64 s[98:99], v205, v219                      // 00000000ECF8: D0C90062 0003B7CD
	s_nop 0                                                    // 00000000ED00: BF800000
	v_cndmask_b32_e64 v27, v222, v27, s[98:99]                 // 00000000ED04: D100001B 018A37DE
	v_add_u32_e32 v205, 0x80, v204                             // 00000000ED0C: 699B98FF 00000080
	v_cmp_lt_u32_e64 s[98:99], v205, v219                      // 00000000ED14: D0C90062 0003B7CD
	s_nop 0                                                    // 00000000ED1C: BF800000
	v_cndmask_b32_e64 v28, v222, v28, s[98:99]                 // 00000000ED20: D100001C 018A39DE
	v_add_u32_e32 v205, 0x81, v204                             // 00000000ED28: 699B98FF 00000081
	v_cmp_lt_u32_e64 s[98:99], v205, v219                      // 00000000ED30: D0C90062 0003B7CD
	s_nop 0                                                    // 00000000ED38: BF800000
	v_cndmask_b32_e64 v29, v222, v29, s[98:99]                 // 00000000ED3C: D100001D 018A3BDE
	v_add_u32_e32 v205, 0x82, v204                             // 00000000ED44: 699B98FF 00000082
	v_cmp_lt_u32_e64 s[98:99], v205, v219                      // 00000000ED4C: D0C90062 0003B7CD
	s_nop 0                                                    // 00000000ED54: BF800000
	v_cndmask_b32_e64 v30, v222, v30, s[98:99]                 // 00000000ED58: D100001E 018A3DDE
	v_add_u32_e32 v205, 0x83, v204                             // 00000000ED60: 699B98FF 00000083
	v_cmp_lt_u32_e64 s[98:99], v205, v219                      // 00000000ED68: D0C90062 0003B7CD
	s_nop 0                                                    // 00000000ED70: BF800000
	v_cndmask_b32_e64 v31, v222, v31, s[98:99]                 // 00000000ED74: D100001F 018A3FDE
	v_add_u32_e32 v205, 0xc0, v204                             // 00000000ED7C: 699B98FF 000000C0
	v_cmp_lt_u32_e64 s[98:99], v205, v219                      // 00000000ED84: D0C90062 0003B7CD
	s_nop 0                                                    // 00000000ED8C: BF800000
	v_cndmask_b32_e64 v32, v222, v32, s[98:99]                 // 00000000ED90: D1000020 018A41DE
	v_add_u32_e32 v205, 0xc1, v204                             // 00000000ED98: 699B98FF 000000C1
	v_cmp_lt_u32_e64 s[98:99], v205, v219                      // 00000000EDA0: D0C90062 0003B7CD
	s_nop 0                                                    // 00000000EDA8: BF800000
	v_cndmask_b32_e64 v33, v222, v33, s[98:99]                 // 00000000EDAC: D1000021 018A43DE
	v_add_u32_e32 v205, 0xc2, v204                             // 00000000EDB4: 699B98FF 000000C2
	v_cmp_lt_u32_e64 s[98:99], v205, v219                      // 00000000EDBC: D0C90062 0003B7CD
	s_nop 0                                                    // 00000000EDC4: BF800000
	v_cndmask_b32_e64 v34, v222, v34, s[98:99]                 // 00000000EDC8: D1000022 018A45DE
	v_add_u32_e32 v205, 0xc3, v204                             // 00000000EDD0: 699B98FF 000000C3
	v_cmp_lt_u32_e64 s[98:99], v205, v219                      // 00000000EDD8: D0C90062 0003B7CD
	s_nop 0                                                    // 00000000EDE0: BF800000
	v_cndmask_b32_e64 v35, v222, v35, s[98:99]                 // 00000000EDE4: D1000023 018A47DE
	v_add_u32_e32 v205, 0, v204                                // 00000000EDEC: 699B9880
	v_cmp_lt_u32_e64 s[98:99], v205, v220                      // 00000000EDF0: D0C90062 0003B9CD
	s_nop 0                                                    // 00000000EDF8: BF800000
	v_cndmask_b32_e64 v36, v222, v36, s[98:99]                 // 00000000EDFC: D1000024 018A49DE
	v_add_u32_e32 v205, 1, v204                                // 00000000EE04: 699B9881
	v_cmp_lt_u32_e64 s[98:99], v205, v220                      // 00000000EE08: D0C90062 0003B9CD
	s_nop 0                                                    // 00000000EE10: BF800000
	v_cndmask_b32_e64 v37, v222, v37, s[98:99]                 // 00000000EE14: D1000025 018A4BDE
	v_add_u32_e32 v205, 2, v204                                // 00000000EE1C: 699B9882
	v_cmp_lt_u32_e64 s[98:99], v205, v220                      // 00000000EE20: D0C90062 0003B9CD
	s_nop 0                                                    // 00000000EE28: BF800000
	v_cndmask_b32_e64 v38, v222, v38, s[98:99]                 // 00000000EE2C: D1000026 018A4DDE
	v_add_u32_e32 v205, 3, v204                                // 00000000EE34: 699B9883
	v_cmp_lt_u32_e64 s[98:99], v205, v220                      // 00000000EE38: D0C90062 0003B9CD
	s_nop 0                                                    // 00000000EE40: BF800000
	v_cndmask_b32_e64 v39, v222, v39, s[98:99]                 // 00000000EE44: D1000027 018A4FDE
	v_add_u32_e32 v205, 64, v204                               // 00000000EE4C: 699B98C0
	v_cmp_lt_u32_e64 s[98:99], v205, v220                      // 00000000EE50: D0C90062 0003B9CD
	s_nop 0                                                    // 00000000EE58: BF800000
	v_cndmask_b32_e64 v40, v222, v40, s[98:99]                 // 00000000EE5C: D1000028 018A51DE
	v_add_u32_e32 v205, 0x41, v204                             // 00000000EE64: 699B98FF 00000041
	v_cmp_lt_u32_e64 s[98:99], v205, v220                      // 00000000EE6C: D0C90062 0003B9CD
	s_nop 0                                                    // 00000000EE74: BF800000
	v_cndmask_b32_e64 v41, v222, v41, s[98:99]                 // 00000000EE78: D1000029 018A53DE
	v_add_u32_e32 v205, 0x42, v204                             // 00000000EE80: 699B98FF 00000042
	v_cmp_lt_u32_e64 s[98:99], v205, v220                      // 00000000EE88: D0C90062 0003B9CD
	s_nop 0                                                    // 00000000EE90: BF800000
	v_cndmask_b32_e64 v42, v222, v42, s[98:99]                 // 00000000EE94: D100002A 018A55DE
	v_add_u32_e32 v205, 0x43, v204                             // 00000000EE9C: 699B98FF 00000043
	v_cmp_lt_u32_e64 s[98:99], v205, v220                      // 00000000EEA4: D0C90062 0003B9CD
	s_nop 0                                                    // 00000000EEAC: BF800000
	v_cndmask_b32_e64 v43, v222, v43, s[98:99]                 // 00000000EEB0: D100002B 018A57DE
	v_add_u32_e32 v205, 0x80, v204                             // 00000000EEB8: 699B98FF 00000080
	v_cmp_lt_u32_e64 s[98:99], v205, v220                      // 00000000EEC0: D0C90062 0003B9CD
	s_nop 0                                                    // 00000000EEC8: BF800000
	v_cndmask_b32_e64 v44, v222, v44, s[98:99]                 // 00000000EECC: D100002C 018A59DE
	v_add_u32_e32 v205, 0x81, v204                             // 00000000EED4: 699B98FF 00000081
	v_cmp_lt_u32_e64 s[98:99], v205, v220                      // 00000000EEDC: D0C90062 0003B9CD
	s_nop 0                                                    // 00000000EEE4: BF800000
	v_cndmask_b32_e64 v45, v222, v45, s[98:99]                 // 00000000EEE8: D100002D 018A5BDE
	v_add_u32_e32 v205, 0x82, v204                             // 00000000EEF0: 699B98FF 00000082
	v_cmp_lt_u32_e64 s[98:99], v205, v220                      // 00000000EEF8: D0C90062 0003B9CD
	s_nop 0                                                    // 00000000EF00: BF800000
	v_cndmask_b32_e64 v46, v222, v46, s[98:99]                 // 00000000EF04: D100002E 018A5DDE
	v_add_u32_e32 v205, 0x83, v204                             // 00000000EF0C: 699B98FF 00000083
	v_cmp_lt_u32_e64 s[98:99], v205, v220                      // 00000000EF14: D0C90062 0003B9CD
	s_nop 0                                                    // 00000000EF1C: BF800000
	v_cndmask_b32_e64 v47, v222, v47, s[98:99]                 // 00000000EF20: D100002F 018A5FDE
	v_add_u32_e32 v205, 0xc0, v204                             // 00000000EF28: 699B98FF 000000C0
	v_cmp_lt_u32_e64 s[98:99], v205, v220                      // 00000000EF30: D0C90062 0003B9CD
	s_nop 0                                                    // 00000000EF38: BF800000
	v_cndmask_b32_e64 v48, v222, v48, s[98:99]                 // 00000000EF3C: D1000030 018A61DE
	v_add_u32_e32 v205, 0xc1, v204                             // 00000000EF44: 699B98FF 000000C1
	v_cmp_lt_u32_e64 s[98:99], v205, v220                      // 00000000EF4C: D0C90062 0003B9CD
	s_nop 0                                                    // 00000000EF54: BF800000
	v_cndmask_b32_e64 v49, v222, v49, s[98:99]                 // 00000000EF58: D1000031 018A63DE
	v_add_u32_e32 v205, 0xc2, v204                             // 00000000EF60: 699B98FF 000000C2
	v_cmp_lt_u32_e64 s[98:99], v205, v220                      // 00000000EF68: D0C90062 0003B9CD
	s_nop 0                                                    // 00000000EF70: BF800000
	v_cndmask_b32_e64 v50, v222, v50, s[98:99]                 // 00000000EF74: D1000032 018A65DE
	v_add_u32_e32 v205, 0xc3, v204                             // 00000000EF7C: 699B98FF 000000C3
	v_cmp_lt_u32_e64 s[98:99], v205, v220                      // 00000000EF84: D0C90062 0003B9CD
	s_nop 0                                                    // 00000000EF8C: BF800000
	v_cndmask_b32_e64 v51, v222, v51, s[98:99]                 // 00000000EF90: D1000033 018A67DE
	v_mov_b32_e32 v182, v4                                     // 00000000EF98: 7F6C0304
	v_max3_f32 v182, v4, v5, v182                              // 00000000EF9C: D1D300B6 06DA0B04
	v_max3_f32 v182, v6, v7, v182                              // 00000000EFA4: D1D300B6 06DA0F06
	v_max3_f32 v182, v8, v9, v182                              // 00000000EFAC: D1D300B6 06DA1308
	v_max3_f32 v182, v10, v11, v182                            // 00000000EFB4: D1D300B6 06DA170A
	v_max3_f32 v182, v12, v13, v182                            // 00000000EFBC: D1D300B6 06DA1B0C
	v_max3_f32 v182, v14, v15, v182                            // 00000000EFC4: D1D300B6 06DA1F0E
	v_max3_f32 v182, v16, v17, v182                            // 00000000EFCC: D1D300B6 06DA2310
	v_max3_f32 v182, v18, v19, v182                            // 00000000EFD4: D1D300B6 06DA2712
	v_mov_b32_e32 v183, v20                                    // 00000000EFDC: 7F6E0314
	v_max3_f32 v183, v20, v21, v183                            // 00000000EFE0: D1D300B7 06DE2B14
	v_max3_f32 v183, v22, v23, v183                            // 00000000EFE8: D1D300B7 06DE2F16
	v_max3_f32 v183, v24, v25, v183                            // 00000000EFF0: D1D300B7 06DE3318
	v_max3_f32 v183, v26, v27, v183                            // 00000000EFF8: D1D300B7 06DE371A
	v_max3_f32 v183, v28, v29, v183                            // 00000000F000: D1D300B7 06DE3B1C
	v_max3_f32 v183, v30, v31, v183                            // 00000000F008: D1D300B7 06DE3F1E
	v_max3_f32 v183, v32, v33, v183                            // 00000000F010: D1D300B7 06DE4320
	v_max3_f32 v183, v34, v35, v183                            // 00000000F018: D1D300B7 06DE4722
	v_mov_b32_e32 v184, v36                                    // 00000000F020: 7F700324
	v_max3_f32 v184, v36, v37, v184                            // 00000000F024: D1D300B8 06E24B24
	v_max3_f32 v184, v38, v39, v184                            // 00000000F02C: D1D300B8 06E24F26
	v_max3_f32 v184, v40, v41, v184                            // 00000000F034: D1D300B8 06E25328
	v_max3_f32 v184, v42, v43, v184                            // 00000000F03C: D1D300B8 06E2572A
	v_max3_f32 v184, v44, v45, v184                            // 00000000F044: D1D300B8 06E25B2C
	v_max3_f32 v184, v46, v47, v184                            // 00000000F04C: D1D300B8 06E25F2E
	v_max3_f32 v184, v48, v49, v184                            // 00000000F054: D1D300B8 06E26330
	v_max3_f32 v184, v50, v51, v184                            // 00000000F05C: D1D300B8 06E26732
	ds_bpermute_b32 v188, v208, v182                           // 00000000F064: D87E0000 BC00B6D0
	ds_bpermute_b32 v189, v209, v182                           // 00000000F06C: D87E0000 BD00B6D1
	ds_bpermute_b32 v190, v210, v182                           // 00000000F074: D87E0000 BE00B6D2
	ds_bpermute_b32 v191, v208, v183                           // 00000000F07C: D87E0000 BF00B7D0
	ds_bpermute_b32 v192, v209, v183                           // 00000000F084: D87E0000 C000B7D1
	ds_bpermute_b32 v193, v210, v183                           // 00000000F08C: D87E0000 C100B7D2
	ds_bpermute_b32 v194, v208, v184                           // 00000000F094: D87E0000 C200B8D0
	ds_bpermute_b32 v195, v209, v184                           // 00000000F09C: D87E0000 C300B8D1
	ds_bpermute_b32 v196, v210, v184                           // 00000000F0A4: D87E0000 C400B8D2
	v_pk_mul_f32 v[124:125], v[170:171], v[124:125]            // 00000000F0AC: D3B1407C 1802F9AA
	v_pk_mul_f32 v[126:127], v[170:171], v[126:127]            // 00000000F0B4: D3B1407E 1802FDAA
	v_pk_mul_f32 v[128:129], v[170:171], v[128:129]            // 00000000F0BC: D3B14080 180301AA
	v_pk_mul_f32 v[130:131], v[170:171], v[130:131]            // 00000000F0C4: D3B14082 180305AA
	v_pk_mul_f32 v[132:133], v[172:173], v[132:133]            // 00000000F0CC: D3B14084 180309AC
	v_pk_mul_f32 v[134:135], v[172:173], v[134:135]            // 00000000F0D4: D3B14086 18030DAC
	v_pk_mul_f32 v[136:137], v[172:173], v[136:137]            // 00000000F0DC: D3B14088 180311AC
	v_pk_mul_f32 v[138:139], v[172:173], v[138:139]            // 00000000F0E4: D3B1408A 180315AC
	v_pk_mul_f32 v[140:141], v[174:175], v[140:141]            // 00000000F0EC: D3B1408C 180319AE
	v_pk_mul_f32 v[142:143], v[174:175], v[142:143]            // 00000000F0F4: D3B1408E 18031DAE
	v_pk_mul_f32 v[144:145], v[174:175], v[144:145]            // 00000000F0FC: D3B14090 180321AE
	v_pk_mul_f32 v[146:147], v[174:175], v[146:147]            // 00000000F104: D3B14092 180325AE
	s_waitcnt lgkmcnt(6)                                       // 00000000F10C: BF8CC67F
	v_max3_f32 v182, v188, v189, v182                          // 00000000F110: D1D300B6 06DB7BBC
	v_max_f32_e32 v182, v190, v182                             // 00000000F118: 176D6DBE
	s_waitcnt lgkmcnt(3)                                       // 00000000F11C: BF8CC37F
	v_max3_f32 v183, v191, v192, v183                          // 00000000F120: D1D300B7 06DF81BF
	v_max_f32_e32 v183, v193, v183                             // 00000000F128: 176F6FC1
	s_waitcnt lgkmcnt(0)                                       // 00000000F12C: BF8CC07F
	v_max3_f32 v184, v194, v195, v184                          // 00000000F130: D1D300B8 06E387C2
	v_max_f32_e32 v184, v196, v184                             // 00000000F138: 177171C4
	ds_write_b128 v249, v[182:185]                             // 00000000F13C: D9BE0000 0000B6F9
	s_waitcnt lgkmcnt(0)                                       // 00000000F144: BF8CC07F
	s_barrier                                                  // 00000000F148: BF8A0000
	ds_read_b128 v[188:191], v250                              // 00000000F14C: D9FE0000 BC0000FA
	ds_read_b128 v[192:195], v250 offset:256                   // 00000000F154: D9FE0100 C00000FA
	ds_read_b128 v[196:199], v250 offset:512                   // 00000000F15C: D9FE0200 C40000FA
	ds_read_b128 v[200:203], v250 offset:768                   // 00000000F164: D9FE0300 C80000FA
	v_pk_mul_f32 v[100:101], v[158:159], v[100:101]            // 00000000F16C: D3B14064 1802C99E
	v_pk_mul_f32 v[102:103], v[158:159], v[102:103]            // 00000000F174: D3B14066 1802CD9E
	v_pk_mul_f32 v[104:105], v[158:159], v[104:105]            // 00000000F17C: D3B14068 1802D19E
	v_pk_mul_f32 v[106:107], v[158:159], v[106:107]            // 00000000F184: D3B1406A 1802D59E
	v_pk_mul_f32 v[108:109], v[160:161], v[108:109]            // 00000000F18C: D3B1406C 1802D9A0
	v_pk_mul_f32 v[110:111], v[160:161], v[110:111]            // 00000000F194: D3B1406E 1802DDA0
	v_pk_mul_f32 v[112:113], v[160:161], v[112:113]            // 00000000F19C: D3B14070 1802E1A0
	v_pk_mul_f32 v[114:115], v[160:161], v[114:115]            // 00000000F1A4: D3B14072 1802E5A0
	v_pk_mul_f32 v[116:117], v[162:163], v[116:117]            // 00000000F1AC: D3B14074 1802E9A2
	v_pk_mul_f32 v[118:119], v[162:163], v[118:119]            // 00000000F1B4: D3B14076 1802EDA2
	v_pk_mul_f32 v[120:121], v[162:163], v[120:121]            // 00000000F1BC: D3B14078 1802F1A2
	v_pk_mul_f32 v[122:123], v[162:163], v[122:123]            // 00000000F1C4: D3B1407A 1802F5A2
	s_waitcnt lgkmcnt(0)                                       // 00000000F1CC: BF8CC07F
	v_max3_f32 v182, v188, v192, v182                          // 00000000F1D0: D1D300B6 06DB81BC
	v_max3_f32 v183, v189, v193, v183                          // 00000000F1D8: D1D300B7 06DF83BD
	v_max3_f32 v184, v190, v194, v184                          // 00000000F1E0: D1D300B8 06E385BE
	v_max3_f32 v182, v196, v200, v182                          // 00000000F1E8: D1D300B6 06DB91C4
	v_max3_f32 v183, v197, v201, v183                          // 00000000F1F0: D1D300B7 06DF93C5
	v_max3_f32 v184, v198, v202, v184                          // 00000000F1F8: D1D300B8 06E395C6
	v_max_f32_e32 v167, v182, v164                             // 00000000F200: 174F49B6
	v_mul_f32_e64 v204, -s46, v167                             // 00000000F204: D10500CC 20034E2E
	v_mov_b32_e32 v205, v204                                   // 00000000F20C: 7F9A03CC
	v_pk_fma_f32 v[4:5], v[4:5], s[46:47], v[204:205]          // 00000000F210: D3B04004 1F305D04
	v_pk_fma_f32 v[6:7], v[6:7], s[46:47], v[204:205]          // 00000000F218: D3B04006 1F305D06
	v_exp_f32_e32 v4, v4                                       // 00000000F220: 7E084104
	v_exp_f32_e32 v5, v5                                       // 00000000F224: 7E0A4105
	v_exp_f32_e32 v6, v6                                       // 00000000F228: 7E0C4106
	v_exp_f32_e32 v7, v7                                       // 00000000F22C: 7E0E4107
	v_pk_fma_f32 v[8:9], v[8:9], s[46:47], v[204:205]          // 00000000F230: D3B04008 1F305D08
	v_pk_fma_f32 v[10:11], v[10:11], s[46:47], v[204:205]      // 00000000F238: D3B0400A 1F305D0A
	v_exp_f32_e32 v8, v8                                       // 00000000F240: 7E104108
	v_exp_f32_e32 v9, v9                                       // 00000000F244: 7E124109
	v_exp_f32_e32 v10, v10                                     // 00000000F248: 7E14410A
	v_exp_f32_e32 v11, v11                                     // 00000000F24C: 7E16410B
	v_pk_fma_f32 v[12:13], v[12:13], s[46:47], v[204:205]      // 00000000F250: D3B0400C 1F305D0C
	v_pk_fma_f32 v[14:15], v[14:15], s[46:47], v[204:205]      // 00000000F258: D3B0400E 1F305D0E
	v_exp_f32_e32 v12, v12                                     // 00000000F260: 7E18410C
	v_exp_f32_e32 v13, v13                                     // 00000000F264: 7E1A410D
	v_exp_f32_e32 v14, v14                                     // 00000000F268: 7E1C410E
	v_exp_f32_e32 v15, v15                                     // 00000000F26C: 7E1E410F
	v_pk_fma_f32 v[16:17], v[16:17], s[46:47], v[204:205]      // 00000000F270: D3B04010 1F305D10
	v_pk_fma_f32 v[18:19], v[18:19], s[46:47], v[204:205]      // 00000000F278: D3B04012 1F305D12
	v_exp_f32_e32 v16, v16                                     // 00000000F280: 7E204110
	v_exp_f32_e32 v17, v17                                     // 00000000F284: 7E224111
	v_exp_f32_e32 v18, v18                                     // 00000000F288: 7E244112
	v_exp_f32_e32 v19, v19                                     // 00000000F28C: 7E264113
	v_max_f32_e32 v168, v183, v165                             // 00000000F290: 17514BB7
	v_mul_f32_e64 v204, -s46, v168                             // 00000000F294: D10500CC 2003502E
	v_mov_b32_e32 v205, v204                                   // 00000000F29C: 7F9A03CC
	v_pk_fma_f32 v[20:21], v[20:21], s[46:47], v[204:205]      // 00000000F2A0: D3B04014 1F305D14
	v_pk_fma_f32 v[22:23], v[22:23], s[46:47], v[204:205]      // 00000000F2A8: D3B04016 1F305D16
	v_exp_f32_e32 v20, v20                                     // 00000000F2B0: 7E284114
	v_exp_f32_e32 v21, v21                                     // 00000000F2B4: 7E2A4115
	v_exp_f32_e32 v22, v22                                     // 00000000F2B8: 7E2C4116
	v_exp_f32_e32 v23, v23                                     // 00000000F2BC: 7E2E4117
	v_pk_fma_f32 v[24:25], v[24:25], s[46:47], v[204:205]      // 00000000F2C0: D3B04018 1F305D18
	v_pk_fma_f32 v[26:27], v[26:27], s[46:47], v[204:205]      // 00000000F2C8: D3B0401A 1F305D1A
	v_exp_f32_e32 v24, v24                                     // 00000000F2D0: 7E304118
	v_exp_f32_e32 v25, v25                                     // 00000000F2D4: 7E324119
	v_exp_f32_e32 v26, v26                                     // 00000000F2D8: 7E34411A
	v_exp_f32_e32 v27, v27                                     // 00000000F2DC: 7E36411B
	v_pk_fma_f32 v[28:29], v[28:29], s[46:47], v[204:205]      // 00000000F2E0: D3B0401C 1F305D1C
	v_pk_fma_f32 v[30:31], v[30:31], s[46:47], v[204:205]      // 00000000F2E8: D3B0401E 1F305D1E
	v_exp_f32_e32 v28, v28                                     // 00000000F2F0: 7E38411C
	v_exp_f32_e32 v29, v29                                     // 00000000F2F4: 7E3A411D
	v_exp_f32_e32 v30, v30                                     // 00000000F2F8: 7E3C411E
	v_exp_f32_e32 v31, v31                                     // 00000000F2FC: 7E3E411F
	v_pk_fma_f32 v[32:33], v[32:33], s[46:47], v[204:205]      // 00000000F300: D3B04020 1F305D20
	v_pk_fma_f32 v[34:35], v[34:35], s[46:47], v[204:205]      // 00000000F308: D3B04022 1F305D22
	v_exp_f32_e32 v32, v32                                     // 00000000F310: 7E404120
	v_exp_f32_e32 v33, v33                                     // 00000000F314: 7E424121
	v_exp_f32_e32 v34, v34                                     // 00000000F318: 7E444122
	v_exp_f32_e32 v35, v35                                     // 00000000F31C: 7E464123
	v_max_f32_e32 v169, v184, v166                             // 00000000F320: 17534DB8
	v_mul_f32_e64 v204, -s46, v169                             // 00000000F324: D10500CC 2003522E
	v_mov_b32_e32 v205, v204                                   // 00000000F32C: 7F9A03CC
	v_pk_fma_f32 v[36:37], v[36:37], s[46:47], v[204:205]      // 00000000F330: D3B04024 1F305D24
	v_pk_fma_f32 v[38:39], v[38:39], s[46:47], v[204:205]      // 00000000F338: D3B04026 1F305D26
	v_exp_f32_e32 v36, v36                                     // 00000000F340: 7E484124
	v_exp_f32_e32 v37, v37                                     // 00000000F344: 7E4A4125
	v_exp_f32_e32 v38, v38                                     // 00000000F348: 7E4C4126
	v_exp_f32_e32 v39, v39                                     // 00000000F34C: 7E4E4127
	v_pk_fma_f32 v[40:41], v[40:41], s[46:47], v[204:205]      // 00000000F350: D3B04028 1F305D28
	v_pk_fma_f32 v[42:43], v[42:43], s[46:47], v[204:205]      // 00000000F358: D3B0402A 1F305D2A
	v_exp_f32_e32 v40, v40                                     // 00000000F360: 7E504128
	v_exp_f32_e32 v41, v41                                     // 00000000F364: 7E524129
	v_exp_f32_e32 v42, v42                                     // 00000000F368: 7E54412A
	v_exp_f32_e32 v43, v43                                     // 00000000F36C: 7E56412B
	v_pk_fma_f32 v[44:45], v[44:45], s[46:47], v[204:205]      // 00000000F370: D3B0402C 1F305D2C
	v_pk_fma_f32 v[46:47], v[46:47], s[46:47], v[204:205]      // 00000000F378: D3B0402E 1F305D2E
	v_exp_f32_e32 v44, v44                                     // 00000000F380: 7E58412C
	v_exp_f32_e32 v45, v45                                     // 00000000F384: 7E5A412D
	v_exp_f32_e32 v46, v46                                     // 00000000F388: 7E5C412E
	v_exp_f32_e32 v47, v47                                     // 00000000F38C: 7E5E412F
	v_pk_fma_f32 v[48:49], v[48:49], s[46:47], v[204:205]      // 00000000F390: D3B04030 1F305D30
	v_pk_fma_f32 v[50:51], v[50:51], s[46:47], v[204:205]      // 00000000F398: D3B04032 1F305D32
	v_exp_f32_e32 v48, v48                                     // 00000000F3A0: 7E604130
	v_exp_f32_e32 v49, v49                                     // 00000000F3A4: 7E624131
	v_exp_f32_e32 v50, v50                                     // 00000000F3A8: 7E644132
	v_exp_f32_e32 v51, v51                                     // 00000000F3AC: 7E664133
	v_mul_f32_dpp v52, v157, v4 row_newbcast:0 row_mask:0xf bank_mask:0xf// 00000000F3B0: 0A6808FA FF01509D
	v_mul_f32_dpp v53, v157, v5 row_newbcast:1 row_mask:0xf bank_mask:0xf// 00000000F3B8: 0A6A0AFA FF01519D
	v_mul_f32_dpp v54, v157, v6 row_newbcast:2 row_mask:0xf bank_mask:0xf// 00000000F3C0: 0A6C0CFA FF01529D
	v_mul_f32_dpp v55, v157, v7 row_newbcast:3 row_mask:0xf bank_mask:0xf// 00000000F3C8: 0A6E0EFA FF01539D
	v_mul_f32_dpp v56, v157, v8 row_newbcast:4 row_mask:0xf bank_mask:0xf// 00000000F3D0: 0A7010FA FF01549D
	v_mul_f32_dpp v57, v157, v9 row_newbcast:5 row_mask:0xf bank_mask:0xf// 00000000F3D8: 0A7212FA FF01559D
	v_mul_f32_dpp v58, v157, v10 row_newbcast:6 row_mask:0xf bank_mask:0xf// 00000000F3E0: 0A7414FA FF01569D
	v_mul_f32_dpp v59, v157, v11 row_newbcast:7 row_mask:0xf bank_mask:0xf// 00000000F3E8: 0A7616FA FF01579D
	v_mul_f32_dpp v60, v157, v12 row_newbcast:8 row_mask:0xf bank_mask:0xf// 00000000F3F0: 0A7818FA FF01589D
	v_mul_f32_dpp v61, v157, v13 row_newbcast:9 row_mask:0xf bank_mask:0xf// 00000000F3F8: 0A7A1AFA FF01599D
	v_mul_f32_dpp v62, v157, v14 row_newbcast:10 row_mask:0xf bank_mask:0xf// 00000000F400: 0A7C1CFA FF015A9D
	v_mul_f32_dpp v63, v157, v15 row_newbcast:11 row_mask:0xf bank_mask:0xf// 00000000F408: 0A7E1EFA FF015B9D
	v_mul_f32_dpp v64, v157, v16 row_newbcast:12 row_mask:0xf bank_mask:0xf// 00000000F410: 0A8020FA FF015C9D
	v_mul_f32_dpp v65, v157, v17 row_newbcast:13 row_mask:0xf bank_mask:0xf// 00000000F418: 0A8222FA FF015D9D
	v_mul_f32_dpp v66, v157, v18 row_newbcast:14 row_mask:0xf bank_mask:0xf// 00000000F420: 0A8424FA FF015E9D
	v_mul_f32_dpp v67, v157, v19 row_newbcast:15 row_mask:0xf bank_mask:0xf// 00000000F428: 0A8626FA FF015F9D
	v_mul_f32_dpp v68, v157, v20 row_newbcast:0 row_mask:0xf bank_mask:0xf// 00000000F430: 0A8828FA FF01509D
	v_mul_f32_dpp v69, v157, v21 row_newbcast:1 row_mask:0xf bank_mask:0xf// 00000000F438: 0A8A2AFA FF01519D
	v_mul_f32_dpp v70, v157, v22 row_newbcast:2 row_mask:0xf bank_mask:0xf// 00000000F440: 0A8C2CFA FF01529D
	v_mul_f32_dpp v71, v157, v23 row_newbcast:3 row_mask:0xf bank_mask:0xf// 00000000F448: 0A8E2EFA FF01539D
	v_mul_f32_dpp v72, v157, v24 row_newbcast:4 row_mask:0xf bank_mask:0xf// 00000000F450: 0A9030FA FF01549D
	v_mul_f32_dpp v73, v157, v25 row_newbcast:5 row_mask:0xf bank_mask:0xf// 00000000F458: 0A9232FA FF01559D
	v_mul_f32_dpp v74, v157, v26 row_newbcast:6 row_mask:0xf bank_mask:0xf// 00000000F460: 0A9434FA FF01569D
	v_mul_f32_dpp v75, v157, v27 row_newbcast:7 row_mask:0xf bank_mask:0xf// 00000000F468: 0A9636FA FF01579D
	v_mul_f32_dpp v76, v157, v28 row_newbcast:8 row_mask:0xf bank_mask:0xf// 00000000F470: 0A9838FA FF01589D
	v_mul_f32_dpp v77, v157, v29 row_newbcast:9 row_mask:0xf bank_mask:0xf// 00000000F478: 0A9A3AFA FF01599D
	v_mul_f32_dpp v78, v157, v30 row_newbcast:10 row_mask:0xf bank_mask:0xf// 00000000F480: 0A9C3CFA FF015A9D
	v_mul_f32_dpp v79, v157, v31 row_newbcast:11 row_mask:0xf bank_mask:0xf// 00000000F488: 0A9E3EFA FF015B9D
	v_mul_f32_dpp v80, v157, v32 row_newbcast:12 row_mask:0xf bank_mask:0xf// 00000000F490: 0AA040FA FF015C9D
	v_mul_f32_dpp v81, v157, v33 row_newbcast:13 row_mask:0xf bank_mask:0xf// 00000000F498: 0AA242FA FF015D9D
	v_mul_f32_dpp v82, v157, v34 row_newbcast:14 row_mask:0xf bank_mask:0xf// 00000000F4A0: 0AA444FA FF015E9D
	v_mul_f32_dpp v83, v157, v35 row_newbcast:15 row_mask:0xf bank_mask:0xf// 00000000F4A8: 0AA646FA FF015F9D
	v_mul_f32_dpp v84, v157, v36 row_newbcast:0 row_mask:0xf bank_mask:0xf// 00000000F4B0: 0AA848FA FF01509D
	v_mul_f32_dpp v85, v157, v37 row_newbcast:1 row_mask:0xf bank_mask:0xf// 00000000F4B8: 0AAA4AFA FF01519D
	v_mul_f32_dpp v86, v157, v38 row_newbcast:2 row_mask:0xf bank_mask:0xf// 00000000F4C0: 0AAC4CFA FF01529D
	v_mul_f32_dpp v87, v157, v39 row_newbcast:3 row_mask:0xf bank_mask:0xf// 00000000F4C8: 0AAE4EFA FF01539D
	v_mul_f32_dpp v88, v157, v40 row_newbcast:4 row_mask:0xf bank_mask:0xf// 00000000F4D0: 0AB050FA FF01549D
	v_mul_f32_dpp v89, v157, v41 row_newbcast:5 row_mask:0xf bank_mask:0xf// 00000000F4D8: 0AB252FA FF01559D
	v_mul_f32_dpp v90, v157, v42 row_newbcast:6 row_mask:0xf bank_mask:0xf// 00000000F4E0: 0AB454FA FF01569D
	v_mul_f32_dpp v91, v157, v43 row_newbcast:7 row_mask:0xf bank_mask:0xf// 00000000F4E8: 0AB656FA FF01579D
	v_mul_f32_dpp v92, v157, v44 row_newbcast:8 row_mask:0xf bank_mask:0xf// 00000000F4F0: 0AB858FA FF01589D
	v_mul_f32_dpp v93, v157, v45 row_newbcast:9 row_mask:0xf bank_mask:0xf// 00000000F4F8: 0ABA5AFA FF01599D
	v_mul_f32_dpp v94, v157, v46 row_newbcast:10 row_mask:0xf bank_mask:0xf// 00000000F500: 0ABC5CFA FF015A9D
	v_mul_f32_dpp v95, v157, v47 row_newbcast:11 row_mask:0xf bank_mask:0xf// 00000000F508: 0ABE5EFA FF015B9D
	v_mul_f32_dpp v96, v157, v48 row_newbcast:12 row_mask:0xf bank_mask:0xf// 00000000F510: 0AC060FA FF015C9D
	v_mul_f32_dpp v97, v157, v49 row_newbcast:13 row_mask:0xf bank_mask:0xf// 00000000F518: 0AC262FA FF015D9D
	v_mul_f32_dpp v98, v157, v50 row_newbcast:14 row_mask:0xf bank_mask:0xf// 00000000F520: 0AC464FA FF015E9D
	v_mul_f32_dpp v99, v157, v51 row_newbcast:15 row_mask:0xf bank_mask:0xf// 00000000F528: 0AC666FA FF015F9D
	v_add_u32_e32 v204, s64, v221                              // 00000000F530: 6999BA40
	v_add_u32_e32 v205, 0, v204                                // 00000000F534: 699B9880
	v_cmp_lt_u32_e32 vcc, v205, v218                           // 00000000F538: 7D93B5CD
	v_cndmask_b32_e32 v52, 0, v52, vcc                         // 00000000F53C: 00686880
	v_cmp_lt_u32_e32 vcc, v205, v219                           // 00000000F540: 7D93B7CD
	v_cndmask_b32_e32 v68, 0, v68, vcc                         // 00000000F544: 00888880
	v_cmp_lt_u32_e32 vcc, v205, v220                           // 00000000F548: 7D93B9CD
	v_cndmask_b32_e32 v84, 0, v84, vcc                         // 00000000F54C: 00A8A880
	v_add_u32_e32 v205, 1, v204                                // 00000000F550: 699B9881
	v_cmp_lt_u32_e32 vcc, v205, v218                           // 00000000F554: 7D93B5CD
	v_cndmask_b32_e32 v53, 0, v53, vcc                         // 00000000F558: 006A6A80
	v_cmp_lt_u32_e32 vcc, v205, v219                           // 00000000F55C: 7D93B7CD
	v_cndmask_b32_e32 v69, 0, v69, vcc                         // 00000000F560: 008A8A80
	v_cmp_lt_u32_e32 vcc, v205, v220                           // 00000000F564: 7D93B9CD
	v_cndmask_b32_e32 v85, 0, v85, vcc                         // 00000000F568: 00AAAA80
	v_add_u32_e32 v205, 2, v204                                // 00000000F56C: 699B9882
	v_cmp_lt_u32_e32 vcc, v205, v218                           // 00000000F570: 7D93B5CD
	v_cndmask_b32_e32 v54, 0, v54, vcc                         // 00000000F574: 006C6C80
	v_cmp_lt_u32_e32 vcc, v205, v219                           // 00000000F578: 7D93B7CD
	v_cndmask_b32_e32 v70, 0, v70, vcc                         // 00000000F57C: 008C8C80
	v_cmp_lt_u32_e32 vcc, v205, v220                           // 00000000F580: 7D93B9CD
	v_cndmask_b32_e32 v86, 0, v86, vcc                         // 00000000F584: 00ACAC80
	v_add_u32_e32 v205, 3, v204                                // 00000000F588: 699B9883
	v_cmp_lt_u32_e32 vcc, v205, v218                           // 00000000F58C: 7D93B5CD
	v_cndmask_b32_e32 v55, 0, v55, vcc                         // 00000000F590: 006E6E80
	v_cmp_lt_u32_e32 vcc, v205, v219                           // 00000000F594: 7D93B7CD
	v_cndmask_b32_e32 v71, 0, v71, vcc                         // 00000000F598: 008E8E80
	v_cmp_lt_u32_e32 vcc, v205, v220                           // 00000000F59C: 7D93B9CD
	v_cndmask_b32_e32 v87, 0, v87, vcc                         // 00000000F5A0: 00AEAE80
	v_add_u32_e32 v205, 64, v204                               // 00000000F5A4: 699B98C0
	v_cmp_lt_u32_e32 vcc, v205, v218                           // 00000000F5A8: 7D93B5CD
	v_cndmask_b32_e32 v56, 0, v56, vcc                         // 00000000F5AC: 00707080
	v_cmp_lt_u32_e32 vcc, v205, v219                           // 00000000F5B0: 7D93B7CD
	v_cndmask_b32_e32 v72, 0, v72, vcc                         // 00000000F5B4: 00909080
	v_cmp_lt_u32_e32 vcc, v205, v220                           // 00000000F5B8: 7D93B9CD
	v_cndmask_b32_e32 v88, 0, v88, vcc                         // 00000000F5BC: 00B0B080
	v_add_u32_e32 v205, 0x41, v204                             // 00000000F5C0: 699B98FF 00000041
	v_cmp_lt_u32_e32 vcc, v205, v218                           // 00000000F5C8: 7D93B5CD
	v_cndmask_b32_e32 v57, 0, v57, vcc                         // 00000000F5CC: 00727280
	v_cmp_lt_u32_e32 vcc, v205, v219                           // 00000000F5D0: 7D93B7CD
	v_cndmask_b32_e32 v73, 0, v73, vcc                         // 00000000F5D4: 00929280
	v_cmp_lt_u32_e32 vcc, v205, v220                           // 00000000F5D8: 7D93B9CD
	v_cndmask_b32_e32 v89, 0, v89, vcc                         // 00000000F5DC: 00B2B280
	v_add_u32_e32 v205, 0x42, v204                             // 00000000F5E0: 699B98FF 00000042
	v_cmp_lt_u32_e32 vcc, v205, v218                           // 00000000F5E8: 7D93B5CD
	v_cndmask_b32_e32 v58, 0, v58, vcc                         // 00000000F5EC: 00747480
	v_cmp_lt_u32_e32 vcc, v205, v219                           // 00000000F5F0: 7D93B7CD
	v_cndmask_b32_e32 v74, 0, v74, vcc                         // 00000000F5F4: 00949480
	v_cmp_lt_u32_e32 vcc, v205, v220                           // 00000000F5F8: 7D93B9CD
	v_cndmask_b32_e32 v90, 0, v90, vcc                         // 00000000F5FC: 00B4B480
	v_add_u32_e32 v205, 0x43, v204                             // 00000000F600: 699B98FF 00000043
	v_cmp_lt_u32_e32 vcc, v205, v218                           // 00000000F608: 7D93B5CD
	v_cndmask_b32_e32 v59, 0, v59, vcc                         // 00000000F60C: 00767680
	v_cmp_lt_u32_e32 vcc, v205, v219                           // 00000000F610: 7D93B7CD
	v_cndmask_b32_e32 v75, 0, v75, vcc                         // 00000000F614: 00969680
	v_cmp_lt_u32_e32 vcc, v205, v220                           // 00000000F618: 7D93B9CD
	v_cndmask_b32_e32 v91, 0, v91, vcc                         // 00000000F61C: 00B6B680
	v_add_u32_e32 v205, 0x80, v204                             // 00000000F620: 699B98FF 00000080
	v_cmp_lt_u32_e32 vcc, v205, v218                           // 00000000F628: 7D93B5CD
	v_cndmask_b32_e32 v60, 0, v60, vcc                         // 00000000F62C: 00787880
	v_cmp_lt_u32_e32 vcc, v205, v219                           // 00000000F630: 7D93B7CD
	v_cndmask_b32_e32 v76, 0, v76, vcc                         // 00000000F634: 00989880
	v_cmp_lt_u32_e32 vcc, v205, v220                           // 00000000F638: 7D93B9CD
	v_cndmask_b32_e32 v92, 0, v92, vcc                         // 00000000F63C: 00B8B880
	v_add_u32_e32 v205, 0x81, v204                             // 00000000F640: 699B98FF 00000081
	v_cmp_lt_u32_e32 vcc, v205, v218                           // 00000000F648: 7D93B5CD
	v_cndmask_b32_e32 v61, 0, v61, vcc                         // 00000000F64C: 007A7A80
	v_cmp_lt_u32_e32 vcc, v205, v219                           // 00000000F650: 7D93B7CD
	v_cndmask_b32_e32 v77, 0, v77, vcc                         // 00000000F654: 009A9A80
	v_cmp_lt_u32_e32 vcc, v205, v220                           // 00000000F658: 7D93B9CD
	v_cndmask_b32_e32 v93, 0, v93, vcc                         // 00000000F65C: 00BABA80
	v_add_u32_e32 v205, 0x82, v204                             // 00000000F660: 699B98FF 00000082
	v_cmp_lt_u32_e32 vcc, v205, v218                           // 00000000F668: 7D93B5CD
	v_cndmask_b32_e32 v62, 0, v62, vcc                         // 00000000F66C: 007C7C80
	v_cmp_lt_u32_e32 vcc, v205, v219                           // 00000000F670: 7D93B7CD
	v_cndmask_b32_e32 v78, 0, v78, vcc                         // 00000000F674: 009C9C80
	v_cmp_lt_u32_e32 vcc, v205, v220                           // 00000000F678: 7D93B9CD
	v_cndmask_b32_e32 v94, 0, v94, vcc                         // 00000000F67C: 00BCBC80
	v_add_u32_e32 v205, 0x83, v204                             // 00000000F680: 699B98FF 00000083
	v_cmp_lt_u32_e32 vcc, v205, v218                           // 00000000F688: 7D93B5CD
	v_cndmask_b32_e32 v63, 0, v63, vcc                         // 00000000F68C: 007E7E80
	v_cmp_lt_u32_e32 vcc, v205, v219                           // 00000000F690: 7D93B7CD
	v_cndmask_b32_e32 v79, 0, v79, vcc                         // 00000000F694: 009E9E80
	v_cmp_lt_u32_e32 vcc, v205, v220                           // 00000000F698: 7D93B9CD
	v_cndmask_b32_e32 v95, 0, v95, vcc                         // 00000000F69C: 00BEBE80
	v_add_u32_e32 v205, 0xc0, v204                             // 00000000F6A0: 699B98FF 000000C0
	v_cmp_lt_u32_e32 vcc, v205, v218                           // 00000000F6A8: 7D93B5CD
	v_cndmask_b32_e32 v64, 0, v64, vcc                         // 00000000F6AC: 00808080
	v_cmp_lt_u32_e32 vcc, v205, v219                           // 00000000F6B0: 7D93B7CD
	v_cndmask_b32_e32 v80, 0, v80, vcc                         // 00000000F6B4: 00A0A080
	v_cmp_lt_u32_e32 vcc, v205, v220                           // 00000000F6B8: 7D93B9CD
	v_cndmask_b32_e32 v96, 0, v96, vcc                         // 00000000F6BC: 00C0C080
	v_add_u32_e32 v205, 0xc1, v204                             // 00000000F6C0: 699B98FF 000000C1
	v_cmp_lt_u32_e32 vcc, v205, v218                           // 00000000F6C8: 7D93B5CD
	v_cndmask_b32_e32 v65, 0, v65, vcc                         // 00000000F6CC: 00828280
	v_cmp_lt_u32_e32 vcc, v205, v219                           // 00000000F6D0: 7D93B7CD
	v_cndmask_b32_e32 v81, 0, v81, vcc                         // 00000000F6D4: 00A2A280
	v_cmp_lt_u32_e32 vcc, v205, v220                           // 00000000F6D8: 7D93B9CD
	v_cndmask_b32_e32 v97, 0, v97, vcc                         // 00000000F6DC: 00C2C280
	v_add_u32_e32 v205, 0xc2, v204                             // 00000000F6E0: 699B98FF 000000C2
	v_cmp_lt_u32_e32 vcc, v205, v218                           // 00000000F6E8: 7D93B5CD
	v_cndmask_b32_e32 v66, 0, v66, vcc                         // 00000000F6EC: 00848480
	v_cmp_lt_u32_e32 vcc, v205, v219                           // 00000000F6F0: 7D93B7CD
	v_cndmask_b32_e32 v82, 0, v82, vcc                         // 00000000F6F4: 00A4A480
	v_cmp_lt_u32_e32 vcc, v205, v220                           // 00000000F6F8: 7D93B9CD
	v_cndmask_b32_e32 v98, 0, v98, vcc                         // 00000000F6FC: 00C4C480
	v_add_u32_e32 v205, 0xc3, v204                             // 00000000F700: 699B98FF 000000C3
	v_cmp_lt_u32_e32 vcc, v205, v218                           // 00000000F708: 7D93B5CD
	v_cndmask_b32_e32 v67, 0, v67, vcc                         // 00000000F70C: 00868680
	v_cmp_lt_u32_e32 vcc, v205, v219                           // 00000000F710: 7D93B7CD
	v_cndmask_b32_e32 v83, 0, v83, vcc                         // 00000000F714: 00A6A680
	v_cmp_lt_u32_e32 vcc, v205, v220                           // 00000000F718: 7D93B9CD
	v_cndmask_b32_e32 v99, 0, v99, vcc                         // 00000000F71C: 00C6C680
	v_mov_b32_e32 v182, 0x358637bd                             // 00000000F720: 7F6C02FF 358637BD
	v_max3_f32 v182, |v52|, |v53|, v182                        // 00000000F728: D1D303B6 06DA6B34
	v_max3_f32 v182, |v54|, |v55|, v182                        // 00000000F730: D1D303B6 06DA6F36
	v_max3_f32 v182, |v56|, |v57|, v182                        // 00000000F738: D1D303B6 06DA7338
	v_max3_f32 v182, |v58|, |v59|, v182                        // 00000000F740: D1D303B6 06DA773A
	v_max3_f32 v182, |v60|, |v61|, v182                        // 00000000F748: D1D303B6 06DA7B3C
	v_max3_f32 v182, |v62|, |v63|, v182                        // 00000000F750: D1D303B6 06DA7F3E
	v_max3_f32 v182, |v64|, |v65|, v182                        // 00000000F758: D1D303B6 06DA8340
	v_max3_f32 v182, |v66|, |v67|, v182                        // 00000000F760: D1D303B6 06DA8742
	v_mov_b32_e32 v183, 0x358637bd                             // 00000000F768: 7F6E02FF 358637BD
	v_max3_f32 v183, |v68|, |v69|, v183                        // 00000000F770: D1D303B7 06DE8B44
	v_max3_f32 v183, |v70|, |v71|, v183                        // 00000000F778: D1D303B7 06DE8F46
	v_max3_f32 v183, |v72|, |v73|, v183                        // 00000000F780: D1D303B7 06DE9348
	v_max3_f32 v183, |v74|, |v75|, v183                        // 00000000F788: D1D303B7 06DE974A
	v_max3_f32 v183, |v76|, |v77|, v183                        // 00000000F790: D1D303B7 06DE9B4C
	v_max3_f32 v183, |v78|, |v79|, v183                        // 00000000F798: D1D303B7 06DE9F4E
	v_max3_f32 v183, |v80|, |v81|, v183                        // 00000000F7A0: D1D303B7 06DEA350
	v_max3_f32 v183, |v82|, |v83|, v183                        // 00000000F7A8: D1D303B7 06DEA752
	v_mov_b32_e32 v184, 0x358637bd                             // 00000000F7B0: 7F7002FF 358637BD
	v_max3_f32 v184, |v84|, |v85|, v184                        // 00000000F7B8: D1D303B8 06E2AB54
	v_max3_f32 v184, |v86|, |v87|, v184                        // 00000000F7C0: D1D303B8 06E2AF56
	v_max3_f32 v184, |v88|, |v89|, v184                        // 00000000F7C8: D1D303B8 06E2B358
	v_max3_f32 v184, |v90|, |v91|, v184                        // 00000000F7D0: D1D303B8 06E2B75A
	v_max3_f32 v184, |v92|, |v93|, v184                        // 00000000F7D8: D1D303B8 06E2BB5C
	v_max3_f32 v184, |v94|, |v95|, v184                        // 00000000F7E0: D1D303B8 06E2BF5E
	v_max3_f32 v184, |v96|, |v97|, v184                        // 00000000F7E8: D1D303B8 06E2C360
	v_max3_f32 v184, |v98|, |v99|, v184                        // 00000000F7F0: D1D303B8 06E2C762
	ds_bpermute_b32 v188, v208, v182                           // 00000000F7F8: D87E0000 BC00B6D0
	ds_bpermute_b32 v189, v209, v182                           // 00000000F800: D87E0000 BD00B6D1
	ds_bpermute_b32 v190, v210, v182                           // 00000000F808: D87E0000 BE00B6D2
	ds_bpermute_b32 v191, v208, v183                           // 00000000F810: D87E0000 BF00B7D0
	ds_bpermute_b32 v192, v209, v183                           // 00000000F818: D87E0000 C000B7D1
	ds_bpermute_b32 v193, v210, v183                           // 00000000F820: D87E0000 C100B7D2
	ds_bpermute_b32 v194, v208, v184                           // 00000000F828: D87E0000 C200B8D0
	ds_bpermute_b32 v195, v209, v184                           // 00000000F830: D87E0000 C300B8D1
	ds_bpermute_b32 v196, v210, v184                           // 00000000F838: D87E0000 C400B8D2
	s_waitcnt lgkmcnt(6)                                       // 00000000F840: BF8CC67F
	v_max3_f32 v182, v188, v189, v182                          // 00000000F844: D1D300B6 06DB7BBC
	v_max_f32_e32 v182, v190, v182                             // 00000000F84C: 176D6DBE
	s_waitcnt lgkmcnt(3)                                       // 00000000F850: BF8CC37F
	v_max3_f32 v183, v191, v192, v183                          // 00000000F854: D1D300B7 06DF81BF
	v_max_f32_e32 v183, v193, v183                             // 00000000F85C: 176F6FC1
	s_waitcnt lgkmcnt(0)                                       // 00000000F860: BF8CC07F
	v_max3_f32 v184, v194, v195, v184                          // 00000000F864: D1D300B8 06E387C2
	v_max_f32_e32 v184, v196, v184                             // 00000000F86C: 177171C4
	ds_write_b128 v249, v[182:185] offset:4096                 // 00000000F870: D9BE1000 0000B6F9
	buffer_load_dword v154, v235, s[20:23], 0 offen            // 00000000F878: E0501000 80059AEB
	v_sub_f32_e32 v170, v164, v167                             // 00000000F880: 05554FA4
	v_cmp_eq_u32_e64 s[98:99], v222, v164                      // 00000000F884: D0CA0062 000349DE
	v_cndmask_b32_e64 v170, v170, 0, s[98:99]                  // 00000000F88C: D10000AA 018901AA
	v_mov_b32_e32 v164, v167                                   // 00000000F894: 7F4803A7
	v_mul_f32_e32 v170, s46, v170                              // 00000000F898: 0B55542E
	v_exp_f32_e32 v170, v170                                   // 00000000F89C: 7F5441AA
	v_sub_f32_e32 v172, v165, v168                             // 00000000F8A0: 055951A5
	v_cmp_eq_u32_e64 s[98:99], v222, v165                      // 00000000F8A4: D0CA0062 00034BDE
	v_cndmask_b32_e64 v172, v172, 0, s[98:99]                  // 00000000F8AC: D10000AC 018901AC
	v_mov_b32_e32 v165, v168                                   // 00000000F8B4: 7F4A03A8
	v_mul_f32_e32 v172, s46, v172                              // 00000000F8B8: 0B59582E
	v_exp_f32_e32 v172, v172                                   // 00000000F8BC: 7F5841AC
	v_sub_f32_e32 v174, v166, v169                             // 00000000F8C0: 055D53A6
	v_cmp_eq_u32_e64 s[98:99], v222, v166                      // 00000000F8C4: D0CA0062 00034DDE
	v_cndmask_b32_e64 v174, v174, 0, s[98:99]                  // 00000000F8CC: D10000AE 018901AE
	v_mov_b32_e32 v166, v169                                   // 00000000F8D4: 7F4C03A9
	v_mul_f32_e32 v174, s46, v174                              // 00000000F8D8: 0B5D5C2E
	v_exp_f32_e32 v174, v174                                   // 00000000F8DC: 7F5C41AE
	v_mov_b32_e32 v171, v170                                   // 00000000F8E0: 7F5603AA
	v_mov_b32_e32 v173, v172                                   // 00000000F8E4: 7F5A03AC
	v_mov_b32_e32 v175, v174                                   // 00000000F8E8: 7F5E03AE
	s_waitcnt lgkmcnt(0)                                       // 00000000F8EC: BF8CC07F
	s_barrier                                                  // 00000000F8F0: BF8A0000
	ds_read_b128 v[188:191], v250 offset:4096                  // 00000000F8F4: D9FE1000 BC0000FA
	ds_read_b128 v[192:195], v250 offset:4352                  // 00000000F8FC: D9FE1100 C00000FA
	ds_read_b128 v[196:199], v250 offset:4608                  // 00000000F904: D9FE1200 C40000FA
	ds_read_b128 v[200:203], v250 offset:4864                  // 00000000F90C: D9FE1300 C80000FA
	buffer_load_dword v156, v236, s[24:27], 0 offen            // 00000000F914: E0501000 80069CEC
	v_mul_f32_e32 v176, v170, v176                             // 00000000F91C: 0B6161AA
	v_mov_b32_e32 v177, 0                                      // 00000000F920: 7F620280
	v_pk_add_f32 v[176:177], v[4:5], v[176:177]                // 00000000F924: D3B240B0 18036104
	v_pk_add_f32 v[176:177], v[6:7], v[176:177]                // 00000000F92C: D3B240B0 18036106
	v_pk_add_f32 v[176:177], v[8:9], v[176:177]                // 00000000F934: D3B240B0 18036108
	v_pk_add_f32 v[176:177], v[10:11], v[176:177]              // 00000000F93C: D3B240B0 1803610A
	v_pk_add_f32 v[176:177], v[12:13], v[176:177]              // 00000000F944: D3B240B0 1803610C
	v_pk_add_f32 v[176:177], v[14:15], v[176:177]              // 00000000F94C: D3B240B0 1803610E
	v_pk_add_f32 v[176:177], v[16:17], v[176:177]              // 00000000F954: D3B240B0 18036110
	v_pk_add_f32 v[176:177], v[18:19], v[176:177]              // 00000000F95C: D3B240B0 18036112
	v_add_f32_e32 v176, v177, v176                             // 00000000F964: 036161B1
	v_mul_f32_e32 v178, v172, v178                             // 00000000F968: 0B6565AC
	v_mov_b32_e32 v179, 0                                      // 00000000F96C: 7F660280
	v_pk_add_f32 v[178:179], v[20:21], v[178:179]              // 00000000F970: D3B240B2 18036514
	v_pk_add_f32 v[178:179], v[22:23], v[178:179]              // 00000000F978: D3B240B2 18036516
	v_pk_add_f32 v[178:179], v[24:25], v[178:179]              // 00000000F980: D3B240B2 18036518
	v_pk_add_f32 v[178:179], v[26:27], v[178:179]              // 00000000F988: D3B240B2 1803651A
	v_pk_add_f32 v[178:179], v[28:29], v[178:179]              // 00000000F990: D3B240B2 1803651C
	v_pk_add_f32 v[178:179], v[30:31], v[178:179]              // 00000000F998: D3B240B2 1803651E
	v_pk_add_f32 v[178:179], v[32:33], v[178:179]              // 00000000F9A0: D3B240B2 18036520
	v_pk_add_f32 v[178:179], v[34:35], v[178:179]              // 00000000F9A8: D3B240B2 18036522
	v_add_f32_e32 v178, v179, v178                             // 00000000F9B0: 036565B3
	v_mul_f32_e32 v180, v174, v180                             // 00000000F9B4: 0B6969AE
	v_mov_b32_e32 v181, 0                                      // 00000000F9B8: 7F6A0280
	v_pk_add_f32 v[180:181], v[36:37], v[180:181]              // 00000000F9BC: D3B240B4 18036924
	v_pk_add_f32 v[180:181], v[38:39], v[180:181]              // 00000000F9C4: D3B240B4 18036926
	v_pk_add_f32 v[180:181], v[40:41], v[180:181]              // 00000000F9CC: D3B240B4 18036928
	v_pk_add_f32 v[180:181], v[42:43], v[180:181]              // 00000000F9D4: D3B240B4 1803692A
	v_pk_add_f32 v[180:181], v[44:45], v[180:181]              // 00000000F9DC: D3B240B4 1803692C
	v_pk_add_f32 v[180:181], v[46:47], v[180:181]              // 00000000F9E4: D3B240B4 1803692E
	v_pk_add_f32 v[180:181], v[48:49], v[180:181]              // 00000000F9EC: D3B240B4 18036930
	v_pk_add_f32 v[180:181], v[50:51], v[180:181]              // 00000000F9F4: D3B240B4 18036932
	v_add_f32_e32 v180, v181, v180                             // 00000000F9FC: 036969B5
	s_waitcnt lgkmcnt(0)                                       // 00000000FA00: BF8CC07F
	v_max3_f32 v182, v188, v192, v182                          // 00000000FA04: D1D300B6 06DB81BC
	v_max3_f32 v183, v189, v193, v183                          // 00000000FA0C: D1D300B7 06DF83BD
	v_max3_f32 v184, v190, v194, v184                          // 00000000FA14: D1D300B8 06E385BE
	v_max3_f32 v182, v196, v200, v182                          // 00000000FA1C: D1D300B6 06DB91C4
	v_max3_f32 v183, v197, v201, v183                          // 00000000FA24: D1D300B7 06DF93C5
	v_max3_f32 v184, v198, v202, v184                          // 00000000FA2C: D1D300B8 06E395C6
	v_rcp_f32_e32 v182, v182                                   // 00000000FA34: 7F6C45B6
	v_rcp_f32_e32 v183, v183                                   // 00000000FA38: 7F6E45B7
	v_rcp_f32_e32 v184, v184                                   // 00000000FA3C: 7F7045B8
	v_mul_f32_e32 v182, 0x43700000, v182                       // 00000000FA40: 0B6D6CFF 43700000
	v_mul_f32_e32 v183, 0x43700000, v183                       // 00000000FA48: 0B6F6EFF 43700000
	v_mul_f32_e32 v184, 0x43700000, v184                       // 00000000FA50: 0B7170FF 43700000
	v_mov_b32_e32 v186, v184                                   // 00000000FA58: 7F7403B8
	v_mov_b32_e32 v187, v184                                   // 00000000FA5C: 7F7603B8
	v_mov_b32_e32 v184, v183                                   // 00000000FA60: 7F7003B7
	v_mov_b32_e32 v185, v183                                   // 00000000FA64: 7F7203B7
	v_mov_b32_e32 v183, v182                                   // 00000000FA68: 7F6E03B6
	v_pk_mul_f32 v[4:5], v[182:183], v[52:53]                  // 00000000FA6C: D3B14004 180269B6
	v_pk_mul_f32 v[6:7], v[182:183], v[54:55]                  // 00000000FA74: D3B14006 18026DB6
	v_pk_mul_f32 v[8:9], v[182:183], v[56:57]                  // 00000000FA7C: D3B14008 180271B6
	v_pk_mul_f32 v[10:11], v[182:183], v[58:59]                // 00000000FA84: D3B1400A 180275B6
	v_pk_mul_f32 v[12:13], v[182:183], v[60:61]                // 00000000FA8C: D3B1400C 180279B6
	v_pk_mul_f32 v[14:15], v[182:183], v[62:63]                // 00000000FA94: D3B1400E 18027DB6
	v_pk_mul_f32 v[16:17], v[182:183], v[64:65]                // 00000000FA9C: D3B14010 180281B6
	v_pk_mul_f32 v[18:19], v[182:183], v[66:67]                // 00000000FAA4: D3B14012 180285B6
	v_pk_mul_f32 v[20:21], v[184:185], v[68:69]                // 00000000FAAC: D3B14014 180289B8
	v_pk_mul_f32 v[22:23], v[184:185], v[70:71]                // 00000000FAB4: D3B14016 18028DB8
	v_pk_mul_f32 v[24:25], v[184:185], v[72:73]                // 00000000FABC: D3B14018 180291B8
	v_pk_mul_f32 v[26:27], v[184:185], v[74:75]                // 00000000FAC4: D3B1401A 180295B8
	v_pk_mul_f32 v[28:29], v[184:185], v[76:77]                // 00000000FACC: D3B1401C 180299B8
	v_pk_mul_f32 v[30:31], v[184:185], v[78:79]                // 00000000FAD4: D3B1401E 18029DB8
	v_pk_mul_f32 v[32:33], v[184:185], v[80:81]                // 00000000FADC: D3B14020 1802A1B8
	v_pk_mul_f32 v[34:35], v[184:185], v[82:83]                // 00000000FAE4: D3B14022 1802A5B8
	v_pk_mul_f32 v[36:37], v[186:187], v[84:85]                // 00000000FAEC: D3B14024 1802A9BA
	v_pk_mul_f32 v[38:39], v[186:187], v[86:87]                // 00000000FAF4: D3B14026 1802ADBA
	v_pk_mul_f32 v[40:41], v[186:187], v[88:89]                // 00000000FAFC: D3B14028 1802B1BA
	v_pk_mul_f32 v[42:43], v[186:187], v[90:91]                // 00000000FB04: D3B1402A 1802B5BA
	v_pk_mul_f32 v[44:45], v[186:187], v[92:93]                // 00000000FB0C: D3B1402C 1802B9BA
	v_pk_mul_f32 v[46:47], v[186:187], v[94:95]                // 00000000FB14: D3B1402E 1802BDBA
	v_pk_mul_f32 v[48:49], v[186:187], v[96:97]                // 00000000FB1C: D3B14030 1802C1BA
	v_pk_mul_f32 v[50:51], v[186:187], v[98:99]                // 00000000FB24: D3B14032 1802C5BA
	v_cvt_pk_fp8_f32 v4, v4, v5                                // 00000000FB2C: D2A20004 00020B04
	v_cvt_pk_fp8_f32 v4, v6, v7 op_sel:[0,0,1]                 // 00000000FB34: D2A24004 00020F06
	v_cvt_pk_fp8_f32 v5, v8, v9                                // 00000000FB3C: D2A20005 00021308
	v_cvt_pk_fp8_f32 v5, v10, v11 op_sel:[0,0,1]               // 00000000FB44: D2A24005 0002170A
	v_cvt_pk_fp8_f32 v6, v12, v13                              // 00000000FB4C: D2A20006 00021B0C
	v_cvt_pk_fp8_f32 v6, v14, v15 op_sel:[0,0,1]               // 00000000FB54: D2A24006 00021F0E
	v_cvt_pk_fp8_f32 v7, v16, v17                              // 00000000FB5C: D2A20007 00022310
	v_cvt_pk_fp8_f32 v7, v18, v19 op_sel:[0,0,1]               // 00000000FB64: D2A24007 00022712
	v_cvt_pk_fp8_f32 v8, v20, v21                              // 00000000FB6C: D2A20008 00022B14
	v_cvt_pk_fp8_f32 v8, v22, v23 op_sel:[0,0,1]               // 00000000FB74: D2A24008 00022F16
	v_cvt_pk_fp8_f32 v9, v24, v25                              // 00000000FB7C: D2A20009 00023318
	v_cvt_pk_fp8_f32 v9, v26, v27 op_sel:[0,0,1]               // 00000000FB84: D2A24009 0002371A
	v_cvt_pk_fp8_f32 v10, v28, v29                             // 00000000FB8C: D2A2000A 00023B1C
	v_cvt_pk_fp8_f32 v10, v30, v31 op_sel:[0,0,1]              // 00000000FB94: D2A2400A 00023F1E
	v_cvt_pk_fp8_f32 v11, v32, v33                             // 00000000FB9C: D2A2000B 00024320
	v_cvt_pk_fp8_f32 v11, v34, v35 op_sel:[0,0,1]              // 00000000FBA4: D2A2400B 00024722
	v_cvt_pk_fp8_f32 v12, v36, v37                             // 00000000FBAC: D2A2000C 00024B24
	v_cvt_pk_fp8_f32 v12, v38, v39 op_sel:[0,0,1]              // 00000000FBB4: D2A2400C 00024F26
	v_cvt_pk_fp8_f32 v13, v40, v41                             // 00000000FBBC: D2A2000D 00025328
	v_cvt_pk_fp8_f32 v13, v42, v43 op_sel:[0,0,1]              // 00000000FBC4: D2A2400D 0002572A
	v_cvt_pk_fp8_f32 v14, v44, v45                             // 00000000FBCC: D2A2000E 00025B2C
	v_cvt_pk_fp8_f32 v14, v46, v47 op_sel:[0,0,1]              // 00000000FBD4: D2A2400E 00025F2E
	v_cvt_pk_fp8_f32 v15, v48, v49                             // 00000000FBDC: D2A2000F 00026330
	v_cvt_pk_fp8_f32 v15, v50, v51 op_sel:[0,0,1]              // 00000000FBE4: D2A2400F 00026732
	ds_write_b32 v251, v4 offset:8192                          // 00000000FBEC: D81A2000 000004FB
	ds_write_b32 v251, v5 offset:9216                          // 00000000FBF4: D81A2400 000005FB
	ds_write_b32 v251, v6 offset:10240                         // 00000000FBFC: D81A2800 000006FB
	ds_write_b32 v251, v7 offset:11264                         // 00000000FC04: D81A2C00 000007FB
	ds_write_b32 v251, v8 offset:12288                         // 00000000FC0C: D81A3000 000008FB
	ds_write_b32 v251, v9 offset:13312                         // 00000000FC14: D81A3400 000009FB
	ds_write_b32 v251, v10 offset:14336                        // 00000000FC1C: D81A3800 00000AFB
	ds_write_b32 v251, v11 offset:15360                        // 00000000FC24: D81A3C00 00000BFB
	ds_write_b32 v251, v12 offset:16384                        // 00000000FC2C: D81A4000 00000CFB
	ds_write_b32 v251, v13 offset:17408                        // 00000000FC34: D81A4400 00000DFB
	ds_write_b32 v251, v14 offset:18432                        // 00000000FC3C: D81A4800 00000EFB
	ds_write_b32 v251, v15 offset:19456                        // 00000000FC44: D81A4C00 00000FFB
	v_rcp_f32_e32 v158, v182                                   // 00000000FC4C: 7F3C45B6
	v_rcp_f32_e32 v160, v184                                   // 00000000FC50: 7F4045B8
	v_rcp_f32_e32 v162, v186                                   // 00000000FC54: 7F4445BA
	v_mov_b32_e32 v159, v158                                   // 00000000FC58: 7F3E039E
	v_mov_b32_e32 v161, v160                                   // 00000000FC5C: 7F4203A0
	v_mov_b32_e32 v163, v162                                   // 00000000FC60: 7F4603A2
	v_pk_add_f32 v[124:125], v[124:125], v[100:101]            // 00000000FC64: D3B2407C 1802C97C
	v_pk_add_f32 v[126:127], v[126:127], v[102:103]            // 00000000FC6C: D3B2407E 1802CD7E
	v_pk_add_f32 v[128:129], v[128:129], v[104:105]            // 00000000FC74: D3B24080 1802D180
	v_pk_add_f32 v[130:131], v[130:131], v[106:107]            // 00000000FC7C: D3B24082 1802D582
	v_pk_add_f32 v[132:133], v[132:133], v[108:109]            // 00000000FC84: D3B24084 1802D984
	v_pk_add_f32 v[134:135], v[134:135], v[110:111]            // 00000000FC8C: D3B24086 1802DD86
	v_pk_add_f32 v[136:137], v[136:137], v[112:113]            // 00000000FC94: D3B24088 1802E188
	v_pk_add_f32 v[138:139], v[138:139], v[114:115]            // 00000000FC9C: D3B2408A 1802E58A
	v_pk_add_f32 v[140:141], v[140:141], v[116:117]            // 00000000FCA4: D3B2408C 1802E98C
	v_pk_add_f32 v[142:143], v[142:143], v[118:119]            // 00000000FCAC: D3B2408E 1802ED8E
	v_pk_add_f32 v[144:145], v[144:145], v[120:121]            // 00000000FCB4: D3B24090 1802F190
	v_pk_add_f32 v[146:147], v[146:147], v[122:123]            // 00000000FCBC: D3B24092 1802F592
	s_waitcnt lgkmcnt(0)                                       // 00000000FCC4: BF8CC07F
	s_barrier                                                  // 00000000FCC8: BF8A0000
	ds_read_b128 v[4:7], v252 offset:8192                      // 00000000FCCC: D9FE2000 040000FC
	ds_read_b128 v[8:11], v252 offset:9216                     // 00000000FCD4: D9FE2400 080000FC
	ds_read_b128 v[12:15], v252 offset:10240                   // 00000000FCDC: D9FE2800 0C0000FC
	ds_read_b128 v[16:19], v252 offset:11264                   // 00000000FCE4: D9FE2C00 100000FC
	ds_read_b128 v[20:23], v252 offset:12288                   // 00000000FCEC: D9FE3000 140000FC
	ds_read_b128 v[24:27], v252 offset:13312                   // 00000000FCF4: D9FE3400 180000FC
	ds_read_b128 v[28:31], v252 offset:14336                   // 00000000FCFC: D9FE3800 1C0000FC
	ds_read_b128 v[32:35], v252 offset:15360                   // 00000000FD04: D9FE3C00 200000FC
	ds_read_b128 v[36:39], v252 offset:16384                   // 00000000FD0C: D9FE4000 240000FC
	ds_read_b128 v[40:43], v252 offset:17408                   // 00000000FD14: D9FE4400 280000FC
	ds_read_b128 v[44:47], v252 offset:18432                   // 00000000FD1C: D9FE4800 2C0000FC
	ds_read_b128 v[48:51], v252 offset:19456                   // 00000000FD24: D9FE4C00 300000FC
	s_waitcnt vmcnt(10)                                        // 00000000FD2C: BF8C0F7A
	v_lshrrev_b32_e32 v211, 4, v0                              // 00000000FD30: 21A60084
	v_lshlrev_b32_e32 v211, 4, v211                            // 00000000FD34: 25A7A684
	v_add_u32_e32 v204, s64, v211                              // 00000000FD38: 6999A640
	v_add_u32_e32 v204, 4, v204                                // 00000000FD3C: 69999884
	v_sub_i32 v204, v204, s62                                  // 00000000FD40: D29D00CC 00007DCC
	s_mov_b32 s54, 0                                           // 00000000FD48: BEB60080
	v_add_i32 v205, s54, v204                                  // 00000000FD4C: D29C00CD 00039836
	v_cmp_lt_i32_e64 vcc, v205, 4                              // 00000000FD54: D0C1006A 000109CD
	v_min_u32_e32 v205, 4, v205                                // 00000000FD5C: 1D9B9A84
	v_lshlrev_b32_e32 v205, 3, v205                            // 00000000FD60: 259B9A83
	v_lshrrev_b32_e64 v206, v205, -1                           // 00000000FD64: D11000CE 000183CD
	v_accvgpr_read_b32 v207, a120                              // 00000000FD6C: D3D840CF 18000178
	v_cndmask_b32_e32 v207, 0, v207, vcc                       // 00000000FD74: 019F9E80
	v_and_b32_e32 v207, v207, v206                             // 00000000FD78: 279F9DCF
	v_accvgpr_write_b32 a120, v207                             // 00000000FD7C: D3D94078 180001CF
	v_accvgpr_read_b32 v207, a136                              // 00000000FD84: D3D840CF 18000188
	v_cndmask_b32_e32 v207, 0, v207, vcc                       // 00000000FD8C: 019F9E80
	v_and_b32_e32 v207, v207, v206                             // 00000000FD90: 279F9DCF
	v_accvgpr_write_b32 a136, v207                             // 00000000FD94: D3D94088 180001CF
	s_mov_b32 s54, 4                                           // 00000000FD9C: BEB60084
	v_add_i32 v205, s54, v204                                  // 00000000FDA0: D29C00CD 00039836
	v_cmp_lt_i32_e64 vcc, v205, 4                              // 00000000FDA8: D0C1006A 000109CD
	v_min_u32_e32 v205, 4, v205                                // 00000000FDB0: 1D9B9A84
	v_lshlrev_b32_e32 v205, 3, v205                            // 00000000FDB4: 259B9A83
	v_lshrrev_b32_e64 v206, v205, -1                           // 00000000FDB8: D11000CE 000183CD
	v_accvgpr_read_b32 v207, a121                              // 00000000FDC0: D3D840CF 18000179
	v_cndmask_b32_e32 v207, 0, v207, vcc                       // 00000000FDC8: 019F9E80
	v_and_b32_e32 v207, v207, v206                             // 00000000FDCC: 279F9DCF
	v_accvgpr_write_b32 a121, v207                             // 00000000FDD0: D3D94079 180001CF
	v_accvgpr_read_b32 v207, a137                              // 00000000FDD8: D3D840CF 18000189
	v_cndmask_b32_e32 v207, 0, v207, vcc                       // 00000000FDE0: 019F9E80
	v_and_b32_e32 v207, v207, v206                             // 00000000FDE4: 279F9DCF
	v_accvgpr_write_b32 a137, v207                             // 00000000FDE8: D3D94089 180001CF
	s_mov_b32 s54, 8                                           // 00000000FDF0: BEB60088
	v_add_i32 v205, s54, v204                                  // 00000000FDF4: D29C00CD 00039836
	v_cmp_lt_i32_e64 vcc, v205, 4                              // 00000000FDFC: D0C1006A 000109CD
	v_min_u32_e32 v205, 4, v205                                // 00000000FE04: 1D9B9A84
	v_lshlrev_b32_e32 v205, 3, v205                            // 00000000FE08: 259B9A83
	v_lshrrev_b32_e64 v206, v205, -1                           // 00000000FE0C: D11000CE 000183CD
	v_accvgpr_read_b32 v207, a122                              // 00000000FE14: D3D840CF 1800017A
	v_cndmask_b32_e32 v207, 0, v207, vcc                       // 00000000FE1C: 019F9E80
	v_and_b32_e32 v207, v207, v206                             // 00000000FE20: 279F9DCF
	v_accvgpr_write_b32 a122, v207                             // 00000000FE24: D3D9407A 180001CF
	v_accvgpr_read_b32 v207, a138                              // 00000000FE2C: D3D840CF 1800018A
	v_cndmask_b32_e32 v207, 0, v207, vcc                       // 00000000FE34: 019F9E80
	v_and_b32_e32 v207, v207, v206                             // 00000000FE38: 279F9DCF
	v_accvgpr_write_b32 a138, v207                             // 00000000FE3C: D3D9408A 180001CF
	s_mov_b32 s54, 12                                          // 00000000FE44: BEB6008C
	v_add_i32 v205, s54, v204                                  // 00000000FE48: D29C00CD 00039836
	v_cmp_lt_i32_e64 vcc, v205, 4                              // 00000000FE50: D0C1006A 000109CD
	v_min_u32_e32 v205, 4, v205                                // 00000000FE58: 1D9B9A84
	v_lshlrev_b32_e32 v205, 3, v205                            // 00000000FE5C: 259B9A83
	v_lshrrev_b32_e64 v206, v205, -1                           // 00000000FE60: D11000CE 000183CD
	v_accvgpr_read_b32 v207, a123                              // 00000000FE68: D3D840CF 1800017B
	v_cndmask_b32_e32 v207, 0, v207, vcc                       // 00000000FE70: 019F9E80
	v_and_b32_e32 v207, v207, v206                             // 00000000FE74: 279F9DCF
	v_accvgpr_write_b32 a123, v207                             // 00000000FE78: D3D9407B 180001CF
	v_accvgpr_read_b32 v207, a139                              // 00000000FE80: D3D840CF 1800018B
	v_cndmask_b32_e32 v207, 0, v207, vcc                       // 00000000FE88: 019F9E80
	v_and_b32_e32 v207, v207, v206                             // 00000000FE8C: 279F9DCF
	v_accvgpr_write_b32 a139, v207                             // 00000000FE90: D3D9408B 180001CF
	s_mov_b32 s54, 64                                          // 00000000FE98: BEB600C0
	v_add_i32 v205, s54, v204                                  // 00000000FE9C: D29C00CD 00039836
	v_cmp_lt_i32_e64 vcc, v205, 4                              // 00000000FEA4: D0C1006A 000109CD
	v_min_u32_e32 v205, 4, v205                                // 00000000FEAC: 1D9B9A84
	v_lshlrev_b32_e32 v205, 3, v205                            // 00000000FEB0: 259B9A83
	v_lshrrev_b32_e64 v206, v205, -1                           // 00000000FEB4: D11000CE 000183CD
	v_accvgpr_read_b32 v207, a124                              // 00000000FEBC: D3D840CF 1800017C
	v_cndmask_b32_e32 v207, 0, v207, vcc                       // 00000000FEC4: 019F9E80
	v_and_b32_e32 v207, v207, v206                             // 00000000FEC8: 279F9DCF
	v_accvgpr_write_b32 a124, v207                             // 00000000FECC: D3D9407C 180001CF
	v_accvgpr_read_b32 v207, a140                              // 00000000FED4: D3D840CF 1800018C
	v_cndmask_b32_e32 v207, 0, v207, vcc                       // 00000000FEDC: 019F9E80
	v_and_b32_e32 v207, v207, v206                             // 00000000FEE0: 279F9DCF
	v_accvgpr_write_b32 a140, v207                             // 00000000FEE4: D3D9408C 180001CF
	s_mov_b32 s54, 0x44                                        // 00000000FEEC: BEB600FF 00000044
	v_add_i32 v205, s54, v204                                  // 00000000FEF4: D29C00CD 00039836
	v_cmp_lt_i32_e64 vcc, v205, 4                              // 00000000FEFC: D0C1006A 000109CD
	v_min_u32_e32 v205, 4, v205                                // 00000000FF04: 1D9B9A84
	v_lshlrev_b32_e32 v205, 3, v205                            // 00000000FF08: 259B9A83
	v_lshrrev_b32_e64 v206, v205, -1                           // 00000000FF0C: D11000CE 000183CD
	v_accvgpr_read_b32 v207, a125                              // 00000000FF14: D3D840CF 1800017D
	v_cndmask_b32_e32 v207, 0, v207, vcc                       // 00000000FF1C: 019F9E80
	v_and_b32_e32 v207, v207, v206                             // 00000000FF20: 279F9DCF
	v_accvgpr_write_b32 a125, v207                             // 00000000FF24: D3D9407D 180001CF
	v_accvgpr_read_b32 v207, a141                              // 00000000FF2C: D3D840CF 1800018D
	v_cndmask_b32_e32 v207, 0, v207, vcc                       // 00000000FF34: 019F9E80
	v_and_b32_e32 v207, v207, v206                             // 00000000FF38: 279F9DCF
	v_accvgpr_write_b32 a141, v207                             // 00000000FF3C: D3D9408D 180001CF
	s_mov_b32 s54, 0x48                                        // 00000000FF44: BEB600FF 00000048
	v_add_i32 v205, s54, v204                                  // 00000000FF4C: D29C00CD 00039836
	v_cmp_lt_i32_e64 vcc, v205, 4                              // 00000000FF54: D0C1006A 000109CD
	v_min_u32_e32 v205, 4, v205                                // 00000000FF5C: 1D9B9A84
	v_lshlrev_b32_e32 v205, 3, v205                            // 00000000FF60: 259B9A83
	v_lshrrev_b32_e64 v206, v205, -1                           // 00000000FF64: D11000CE 000183CD
	v_accvgpr_read_b32 v207, a126                              // 00000000FF6C: D3D840CF 1800017E
	v_cndmask_b32_e32 v207, 0, v207, vcc                       // 00000000FF74: 019F9E80
	v_and_b32_e32 v207, v207, v206                             // 00000000FF78: 279F9DCF
	v_accvgpr_write_b32 a126, v207                             // 00000000FF7C: D3D9407E 180001CF
	v_accvgpr_read_b32 v207, a142                              // 00000000FF84: D3D840CF 1800018E
	v_cndmask_b32_e32 v207, 0, v207, vcc                       // 00000000FF8C: 019F9E80
	v_and_b32_e32 v207, v207, v206                             // 00000000FF90: 279F9DCF
	v_accvgpr_write_b32 a142, v207                             // 00000000FF94: D3D9408E 180001CF
	s_mov_b32 s54, 0x4c                                        // 00000000FF9C: BEB600FF 0000004C
	v_add_i32 v205, s54, v204                                  // 00000000FFA4: D29C00CD 00039836
	v_cmp_lt_i32_e64 vcc, v205, 4                              // 00000000FFAC: D0C1006A 000109CD
	v_min_u32_e32 v205, 4, v205                                // 00000000FFB4: 1D9B9A84
	v_lshlrev_b32_e32 v205, 3, v205                            // 00000000FFB8: 259B9A83
	v_lshrrev_b32_e64 v206, v205, -1                           // 00000000FFBC: D11000CE 000183CD
	v_accvgpr_read_b32 v207, a127                              // 00000000FFC4: D3D840CF 1800017F
	v_cndmask_b32_e32 v207, 0, v207, vcc                       // 00000000FFCC: 019F9E80
	v_and_b32_e32 v207, v207, v206                             // 00000000FFD0: 279F9DCF
	v_accvgpr_write_b32 a127, v207                             // 00000000FFD4: D3D9407F 180001CF
	v_accvgpr_read_b32 v207, a143                              // 00000000FFDC: D3D840CF 1800018F
	v_cndmask_b32_e32 v207, 0, v207, vcc                       // 00000000FFE4: 019F9E80
	v_and_b32_e32 v207, v207, v206                             // 00000000FFE8: 279F9DCF
	v_accvgpr_write_b32 a143, v207                             // 00000000FFEC: D3D9408F 180001CF
	s_mov_b32 s54, 0x80                                        // 00000000FFF4: BEB600FF 00000080
	v_add_i32 v205, s54, v204                                  // 00000000FFFC: D29C00CD 00039836
	v_cmp_lt_i32_e64 vcc, v205, 4                              // 000000010004: D0C1006A 000109CD
	v_min_u32_e32 v205, 4, v205                                // 00000001000C: 1D9B9A84
	v_lshlrev_b32_e32 v205, 3, v205                            // 000000010010: 259B9A83
	v_lshrrev_b32_e64 v206, v205, -1                           // 000000010014: D11000CE 000183CD
	v_accvgpr_read_b32 v207, a128                              // 00000001001C: D3D840CF 18000180
	v_cndmask_b32_e32 v207, 0, v207, vcc                       // 000000010024: 019F9E80
	v_and_b32_e32 v207, v207, v206                             // 000000010028: 279F9DCF
	v_accvgpr_write_b32 a128, v207                             // 00000001002C: D3D94080 180001CF
	v_accvgpr_read_b32 v207, a144                              // 000000010034: D3D840CF 18000190
	v_cndmask_b32_e32 v207, 0, v207, vcc                       // 00000001003C: 019F9E80
	v_and_b32_e32 v207, v207, v206                             // 000000010040: 279F9DCF
	v_accvgpr_write_b32 a144, v207                             // 000000010044: D3D94090 180001CF
	s_mov_b32 s54, 0x84                                        // 00000001004C: BEB600FF 00000084
	v_add_i32 v205, s54, v204                                  // 000000010054: D29C00CD 00039836
	v_cmp_lt_i32_e64 vcc, v205, 4                              // 00000001005C: D0C1006A 000109CD
	v_min_u32_e32 v205, 4, v205                                // 000000010064: 1D9B9A84
	v_lshlrev_b32_e32 v205, 3, v205                            // 000000010068: 259B9A83
	v_lshrrev_b32_e64 v206, v205, -1                           // 00000001006C: D11000CE 000183CD
	v_accvgpr_read_b32 v207, a129                              // 000000010074: D3D840CF 18000181
	v_cndmask_b32_e32 v207, 0, v207, vcc                       // 00000001007C: 019F9E80
	v_and_b32_e32 v207, v207, v206                             // 000000010080: 279F9DCF
	v_accvgpr_write_b32 a129, v207                             // 000000010084: D3D94081 180001CF
	v_accvgpr_read_b32 v207, a145                              // 00000001008C: D3D840CF 18000191
	v_cndmask_b32_e32 v207, 0, v207, vcc                       // 000000010094: 019F9E80
	v_and_b32_e32 v207, v207, v206                             // 000000010098: 279F9DCF
	v_accvgpr_write_b32 a145, v207                             // 00000001009C: D3D94091 180001CF
	s_mov_b32 s54, 0x88                                        // 0000000100A4: BEB600FF 00000088
	v_add_i32 v205, s54, v204                                  // 0000000100AC: D29C00CD 00039836
	v_cmp_lt_i32_e64 vcc, v205, 4                              // 0000000100B4: D0C1006A 000109CD
	v_min_u32_e32 v205, 4, v205                                // 0000000100BC: 1D9B9A84
	v_lshlrev_b32_e32 v205, 3, v205                            // 0000000100C0: 259B9A83
	v_lshrrev_b32_e64 v206, v205, -1                           // 0000000100C4: D11000CE 000183CD
	v_accvgpr_read_b32 v207, a130                              // 0000000100CC: D3D840CF 18000182
	v_cndmask_b32_e32 v207, 0, v207, vcc                       // 0000000100D4: 019F9E80
	v_and_b32_e32 v207, v207, v206                             // 0000000100D8: 279F9DCF
	v_accvgpr_write_b32 a130, v207                             // 0000000100DC: D3D94082 180001CF
	v_accvgpr_read_b32 v207, a146                              // 0000000100E4: D3D840CF 18000192
	v_cndmask_b32_e32 v207, 0, v207, vcc                       // 0000000100EC: 019F9E80
	v_and_b32_e32 v207, v207, v206                             // 0000000100F0: 279F9DCF
	v_accvgpr_write_b32 a146, v207                             // 0000000100F4: D3D94092 180001CF
	s_mov_b32 s54, 0x8c                                        // 0000000100FC: BEB600FF 0000008C
	v_add_i32 v205, s54, v204                                  // 000000010104: D29C00CD 00039836
	v_cmp_lt_i32_e64 vcc, v205, 4                              // 00000001010C: D0C1006A 000109CD
	v_min_u32_e32 v205, 4, v205                                // 000000010114: 1D9B9A84
	v_lshlrev_b32_e32 v205, 3, v205                            // 000000010118: 259B9A83
	v_lshrrev_b32_e64 v206, v205, -1                           // 00000001011C: D11000CE 000183CD
	v_accvgpr_read_b32 v207, a131                              // 000000010124: D3D840CF 18000183
	v_cndmask_b32_e32 v207, 0, v207, vcc                       // 00000001012C: 019F9E80
	v_and_b32_e32 v207, v207, v206                             // 000000010130: 279F9DCF
	v_accvgpr_write_b32 a131, v207                             // 000000010134: D3D94083 180001CF
	v_accvgpr_read_b32 v207, a147                              // 00000001013C: D3D840CF 18000193
	v_cndmask_b32_e32 v207, 0, v207, vcc                       // 000000010144: 019F9E80
	v_and_b32_e32 v207, v207, v206                             // 000000010148: 279F9DCF
	v_accvgpr_write_b32 a147, v207                             // 00000001014C: D3D94093 180001CF
	s_mov_b32 s54, 0xc0                                        // 000000010154: BEB600FF 000000C0
	v_add_i32 v205, s54, v204                                  // 00000001015C: D29C00CD 00039836
	v_cmp_lt_i32_e64 vcc, v205, 4                              // 000000010164: D0C1006A 000109CD
	v_min_u32_e32 v205, 4, v205                                // 00000001016C: 1D9B9A84
	v_lshlrev_b32_e32 v205, 3, v205                            // 000000010170: 259B9A83
	v_lshrrev_b32_e64 v206, v205, -1                           // 000000010174: D11000CE 000183CD
	v_accvgpr_read_b32 v207, a132                              // 00000001017C: D3D840CF 18000184
	v_cndmask_b32_e32 v207, 0, v207, vcc                       // 000000010184: 019F9E80
	v_and_b32_e32 v207, v207, v206                             // 000000010188: 279F9DCF
	v_accvgpr_write_b32 a132, v207                             // 00000001018C: D3D94084 180001CF
	v_accvgpr_read_b32 v207, a148                              // 000000010194: D3D840CF 18000194
	v_cndmask_b32_e32 v207, 0, v207, vcc                       // 00000001019C: 019F9E80
	v_and_b32_e32 v207, v207, v206                             // 0000000101A0: 279F9DCF
	v_accvgpr_write_b32 a148, v207                             // 0000000101A4: D3D94094 180001CF
	s_mov_b32 s54, 0xc4                                        // 0000000101AC: BEB600FF 000000C4
	v_add_i32 v205, s54, v204                                  // 0000000101B4: D29C00CD 00039836
	v_cmp_lt_i32_e64 vcc, v205, 4                              // 0000000101BC: D0C1006A 000109CD
	v_min_u32_e32 v205, 4, v205                                // 0000000101C4: 1D9B9A84
	v_lshlrev_b32_e32 v205, 3, v205                            // 0000000101C8: 259B9A83
	v_lshrrev_b32_e64 v206, v205, -1                           // 0000000101CC: D11000CE 000183CD
	v_accvgpr_read_b32 v207, a133                              // 0000000101D4: D3D840CF 18000185
	v_cndmask_b32_e32 v207, 0, v207, vcc                       // 0000000101DC: 019F9E80
	v_and_b32_e32 v207, v207, v206                             // 0000000101E0: 279F9DCF
	v_accvgpr_write_b32 a133, v207                             // 0000000101E4: D3D94085 180001CF
	v_accvgpr_read_b32 v207, a149                              // 0000000101EC: D3D840CF 18000195
	v_cndmask_b32_e32 v207, 0, v207, vcc                       // 0000000101F4: 019F9E80
	v_and_b32_e32 v207, v207, v206                             // 0000000101F8: 279F9DCF
	v_accvgpr_write_b32 a149, v207                             // 0000000101FC: D3D94095 180001CF
	s_mov_b32 s54, 0xc8                                        // 000000010204: BEB600FF 000000C8
	v_add_i32 v205, s54, v204                                  // 00000001020C: D29C00CD 00039836
	v_cmp_lt_i32_e64 vcc, v205, 4                              // 000000010214: D0C1006A 000109CD
	v_min_u32_e32 v205, 4, v205                                // 00000001021C: 1D9B9A84
	v_lshlrev_b32_e32 v205, 3, v205                            // 000000010220: 259B9A83
	v_lshrrev_b32_e64 v206, v205, -1                           // 000000010224: D11000CE 000183CD
	v_accvgpr_read_b32 v207, a134                              // 00000001022C: D3D840CF 18000186
	v_cndmask_b32_e32 v207, 0, v207, vcc                       // 000000010234: 019F9E80
	v_and_b32_e32 v207, v207, v206                             // 000000010238: 279F9DCF
	v_accvgpr_write_b32 a134, v207                             // 00000001023C: D3D94086 180001CF
	v_accvgpr_read_b32 v207, a150                              // 000000010244: D3D840CF 18000196
	v_cndmask_b32_e32 v207, 0, v207, vcc                       // 00000001024C: 019F9E80
	v_and_b32_e32 v207, v207, v206                             // 000000010250: 279F9DCF
	v_accvgpr_write_b32 a150, v207                             // 000000010254: D3D94096 180001CF
	s_mov_b32 s54, 0xcc                                        // 00000001025C: BEB600FF 000000CC
	v_add_i32 v205, s54, v204                                  // 000000010264: D29C00CD 00039836
	v_cmp_lt_i32_e64 vcc, v205, 4                              // 00000001026C: D0C1006A 000109CD
	v_min_u32_e32 v205, 4, v205                                // 000000010274: 1D9B9A84
	v_lshlrev_b32_e32 v205, 3, v205                            // 000000010278: 259B9A83
	v_lshrrev_b32_e64 v206, v205, -1                           // 00000001027C: D11000CE 000183CD
	v_accvgpr_read_b32 v207, a135                              // 000000010284: D3D840CF 18000187
	v_cndmask_b32_e32 v207, 0, v207, vcc                       // 00000001028C: 019F9E80
	v_and_b32_e32 v207, v207, v206                             // 000000010290: 279F9DCF
	v_accvgpr_write_b32 a135, v207                             // 000000010294: D3D94087 180001CF
	v_accvgpr_read_b32 v207, a151                              // 00000001029C: D3D840CF 18000197
	v_cndmask_b32_e32 v207, 0, v207, vcc                       // 0000000102A4: 019F9E80
	v_and_b32_e32 v207, v207, v206                             // 0000000102A8: 279F9DCF
	v_accvgpr_write_b32 a151, v207                             // 0000000102AC: D3D94097 180001CF
	s_waitcnt lgkmcnt(11)                                      // 0000000102B4: BF8CCB7F
	v_mfma_f32_16x16x32_fp8_fp8 v[100:103], a[120:121], v[4:5], 0// 0000000102B8: D3F30064 0A020978
	v_mfma_f32_16x16x32_fp8_fp8 v[104:107], a[136:137], v[4:5], 0// 0000000102C0: D3F30068 0A020988
	v_mfma_f32_16x16x32_fp8_fp8 v[100:103], a[122:123], v[6:7], v[100:103]// 0000000102C8: D3F30064 0D920D7A
	buffer_load_dwordx4 a[88:91], v231, s[16:19], 0 offen      // 0000000102D0: E05C1000 808458E7
	v_mfma_f32_16x16x32_fp8_fp8 v[104:107], a[138:139], v[6:7], v[104:107]// 0000000102D8: D3F30068 0DA20D8A
	s_waitcnt lgkmcnt(10)                                      // 0000000102E0: BF8CCA7F
	v_mfma_f32_16x16x32_fp8_fp8 v[100:103], a[124:125], v[8:9], v[100:103]// 0000000102E4: D3F30064 0D92117C
	v_mfma_f32_16x16x32_fp8_fp8 v[104:107], a[140:141], v[8:9], v[104:107]// 0000000102EC: D3F30068 0DA2118C
	v_mfma_f32_16x16x32_fp8_fp8 v[100:103], a[126:127], v[10:11], v[100:103]// 0000000102F4: D3F30064 0D92157E
	buffer_load_dwordx4 a[92:95], v232, s[16:19], 0 offen      // 0000000102FC: E05C1000 80845CE8
	v_mfma_f32_16x16x32_fp8_fp8 v[104:107], a[142:143], v[10:11], v[104:107]// 000000010304: D3F30068 0DA2158E
	s_waitcnt lgkmcnt(9)                                       // 00000001030C: BF8CC97F
	v_mfma_f32_16x16x32_fp8_fp8 v[100:103], a[128:129], v[12:13], v[100:103]// 000000010310: D3F30064 0D921980
	v_mfma_f32_16x16x32_fp8_fp8 v[104:107], a[144:145], v[12:13], v[104:107]// 000000010318: D3F30068 0DA21990
	v_mfma_f32_16x16x32_fp8_fp8 v[100:103], a[130:131], v[14:15], v[100:103]// 000000010320: D3F30064 0D921D82
	buffer_load_dwordx4 a[96:99], v233, s[16:19], 0 offen      // 000000010328: E05C1000 808460E9
	v_mfma_f32_16x16x32_fp8_fp8 v[104:107], a[146:147], v[14:15], v[104:107]// 000000010330: D3F30068 0DA21D92
	s_waitcnt lgkmcnt(8)                                       // 000000010338: BF8CC87F
	v_mfma_f32_16x16x32_fp8_fp8 v[100:103], a[132:133], v[16:17], v[100:103]// 00000001033C: D3F30064 0D922184
	v_mfma_f32_16x16x32_fp8_fp8 v[104:107], a[148:149], v[16:17], v[104:107]// 000000010344: D3F30068 0DA22194
	v_mfma_f32_16x16x32_fp8_fp8 v[100:103], a[134:135], v[18:19], v[100:103]// 00000001034C: D3F30064 0D922586
	buffer_load_dwordx4 a[100:103], v234, s[16:19], 0 offen    // 000000010354: E05C1000 808464EA
	v_mfma_f32_16x16x32_fp8_fp8 v[104:107], a[150:151], v[18:19], v[104:107]// 00000001035C: D3F30068 0DA22596
	s_waitcnt lgkmcnt(7)                                       // 000000010364: BF8CC77F
	v_mfma_f32_16x16x32_fp8_fp8 v[108:111], a[120:121], v[20:21], 0// 000000010368: D3F3006C 0A022978
	v_mfma_f32_16x16x32_fp8_fp8 v[112:115], a[136:137], v[20:21], 0// 000000010370: D3F30070 0A022988
	v_mfma_f32_16x16x32_fp8_fp8 v[108:111], a[122:123], v[22:23], v[108:111]// 000000010378: D3F3006C 0DB22D7A
	buffer_load_dwordx4 a[104:107], v231, s[16:19], 0 offen offset:1024// 000000010380: E05C1400 808468E7
	v_mfma_f32_16x16x32_fp8_fp8 v[112:115], a[138:139], v[22:23], v[112:115]// 000000010388: D3F30070 0DC22D8A
	s_waitcnt lgkmcnt(6)                                       // 000000010390: BF8CC67F
	v_mfma_f32_16x16x32_fp8_fp8 v[108:111], a[124:125], v[24:25], v[108:111]// 000000010394: D3F3006C 0DB2317C
	v_mfma_f32_16x16x32_fp8_fp8 v[112:115], a[140:141], v[24:25], v[112:115]// 00000001039C: D3F30070 0DC2318C
	v_mfma_f32_16x16x32_fp8_fp8 v[108:111], a[126:127], v[26:27], v[108:111]// 0000000103A4: D3F3006C 0DB2357E
	buffer_load_dwordx4 a[108:111], v232, s[16:19], 0 offen offset:1024// 0000000103AC: E05C1400 80846CE8
	v_mfma_f32_16x16x32_fp8_fp8 v[112:115], a[142:143], v[26:27], v[112:115]// 0000000103B4: D3F30070 0DC2358E
	s_waitcnt lgkmcnt(5)                                       // 0000000103BC: BF8CC57F
	v_mfma_f32_16x16x32_fp8_fp8 v[108:111], a[128:129], v[28:29], v[108:111]// 0000000103C0: D3F3006C 0DB23980
	v_mfma_f32_16x16x32_fp8_fp8 v[112:115], a[144:145], v[28:29], v[112:115]// 0000000103C8: D3F30070 0DC23990
	v_mfma_f32_16x16x32_fp8_fp8 v[108:111], a[130:131], v[30:31], v[108:111]// 0000000103D0: D3F3006C 0DB23D82
	buffer_load_dwordx4 a[112:115], v233, s[16:19], 0 offen offset:1024// 0000000103D8: E05C1400 808470E9
	v_mfma_f32_16x16x32_fp8_fp8 v[112:115], a[146:147], v[30:31], v[112:115]// 0000000103E0: D3F30070 0DC23D92
	s_waitcnt lgkmcnt(4)                                       // 0000000103E8: BF8CC47F
	v_mfma_f32_16x16x32_fp8_fp8 v[108:111], a[132:133], v[32:33], v[108:111]// 0000000103EC: D3F3006C 0DB24184
	v_mfma_f32_16x16x32_fp8_fp8 v[112:115], a[148:149], v[32:33], v[112:115]// 0000000103F4: D3F30070 0DC24194
	v_mfma_f32_16x16x32_fp8_fp8 v[108:111], a[134:135], v[34:35], v[108:111]// 0000000103FC: D3F3006C 0DB24586
	buffer_load_dwordx4 a[116:119], v234, s[16:19], 0 offen offset:1024// 000000010404: E05C1400 808474EA
	v_mfma_f32_16x16x32_fp8_fp8 v[112:115], a[150:151], v[34:35], v[112:115]// 00000001040C: D3F30070 0DC24596
	s_waitcnt lgkmcnt(3)                                       // 000000010414: BF8CC37F
	v_mfma_f32_16x16x32_fp8_fp8 v[116:119], a[120:121], v[36:37], 0// 000000010418: D3F30074 0A024978
	v_mfma_f32_16x16x32_fp8_fp8 v[120:123], a[136:137], v[36:37], 0// 000000010420: D3F30078 0A024988
	v_mfma_f32_16x16x32_fp8_fp8 v[116:119], a[122:123], v[38:39], v[116:119]// 000000010428: D3F30074 0DD24D7A
	v_mfma_f32_16x16x32_fp8_fp8 v[120:123], a[138:139], v[38:39], v[120:123]// 000000010430: D3F30078 0DE24D8A
	s_waitcnt lgkmcnt(2)                                       // 000000010438: BF8CC27F
	v_mfma_f32_16x16x32_fp8_fp8 v[116:119], a[124:125], v[40:41], v[116:119]// 00000001043C: D3F30074 0DD2517C
	v_mfma_f32_16x16x32_fp8_fp8 v[120:123], a[140:141], v[40:41], v[120:123]// 000000010444: D3F30078 0DE2518C
	v_mfma_f32_16x16x32_fp8_fp8 v[116:119], a[126:127], v[42:43], v[116:119]// 00000001044C: D3F30074 0DD2557E
	v_mfma_f32_16x16x32_fp8_fp8 v[120:123], a[142:143], v[42:43], v[120:123]// 000000010454: D3F30078 0DE2558E
	s_waitcnt lgkmcnt(1)                                       // 00000001045C: BF8CC17F
	v_mfma_f32_16x16x32_fp8_fp8 v[116:119], a[128:129], v[44:45], v[116:119]// 000000010460: D3F30074 0DD25980
	v_mfma_f32_16x16x32_fp8_fp8 v[120:123], a[144:145], v[44:45], v[120:123]// 000000010468: D3F30078 0DE25990
	v_mfma_f32_16x16x32_fp8_fp8 v[116:119], a[130:131], v[46:47], v[116:119]// 000000010470: D3F30074 0DD25D82
	v_mfma_f32_16x16x32_fp8_fp8 v[120:123], a[146:147], v[46:47], v[120:123]// 000000010478: D3F30078 0DE25D92
	s_waitcnt lgkmcnt(0)                                       // 000000010480: BF8CC07F
	v_mfma_f32_16x16x32_fp8_fp8 v[116:119], a[132:133], v[48:49], v[116:119]// 000000010484: D3F30074 0DD26184
	v_mfma_f32_16x16x32_fp8_fp8 v[120:123], a[148:149], v[48:49], v[120:123]// 00000001048C: D3F30078 0DE26194
	v_mfma_f32_16x16x32_fp8_fp8 v[116:119], a[134:135], v[50:51], v[116:119]// 000000010494: D3F30074 0DD26586
	v_mfma_f32_16x16x32_fp8_fp8 v[120:123], a[150:151], v[50:51], v[120:123]// 00000001049C: D3F30078 0DE26596
	s_addk_i32 s64, 0x100                                      // 0000000104A4: B7400100

00000000000104a8 <label_372A>:
	s_cmp_lt_i32 s64, s62                                      // 0000000104A8: BF043E40
	s_cbranch_scc0 label_465C                                  // 0000000104AC: BF840F30
	s_waitcnt vmcnt(10)                                        // 0000000104B0: BF8C0F7A
	v_mfma_f32_16x16x32_fp8_fp8 v[4:7], a[24:25], a[0:1], 0    // 0000000104B4: D3F30004 1A020118
	s_add_u32 s12, s86, s69                                    // 0000000104BC: 800C4556
	s_addc_u32 s13, s87, 0                                     // 0000000104C0: 820D8057
	v_mfma_f32_16x16x32_fp8_fp8 v[4:7], a[26:27], a[2:3], v[4:7]// 0000000104C4: D3F30004 1C12051A
	s_add_u32 s16, s88, s70                                    // 0000000104CC: 80104658
	s_addc_u32 s17, s89, 0                                     // 0000000104D0: 82118059
	v_mfma_f32_16x16x32_fp8_fp8 v[4:7], a[28:29], a[4:5], v[4:7]// 0000000104D4: D3F30004 1C12091C
	buffer_load_dwordx4 a[56:59], v229, s[12:15], 0 offen      // 0000000104DC: E05C1000 808338E5
	v_mfma_f32_16x16x32_fp8_fp8 v[4:7], a[30:31], a[6:7], v[4:7]// 0000000104E4: D3F30004 1C120D1E
	s_add_u32 s20, s90, s71                                    // 0000000104EC: 8014475A
	s_addc_u32 s21, s91, 0                                     // 0000000104F0: 8215805B
	v_mfma_f32_16x16x32_fp8_fp8 v[8:11], a[32:33], a[0:1], 0   // 0000000104F4: D3F30008 1A020120
	s_add_u32 s24, s92, s71                                    // 0000000104FC: 8018475C
	s_addc_u32 s25, s93, 0                                     // 000000010500: 8219805D
	v_mfma_f32_16x16x32_fp8_fp8 v[8:11], a[34:35], a[2:3], v[8:11]// 000000010504: D3F30008 1C220522
	s_mul_i32 s69, s59, s50                                    // 00000001050C: 9245323B
	s_mul_i32 s71, s59, s66                                    // 000000010510: 9247423B
	v_mfma_f32_16x16x32_fp8_fp8 v[8:11], a[36:37], a[4:5], v[8:11]// 000000010514: D3F30008 1C220924
	buffer_load_dwordx4 a[60:63], v230, s[12:15], 0 offen      // 00000001051C: E05C1000 80833CE6
	v_mfma_f32_16x16x32_fp8_fp8 v[8:11], a[38:39], a[6:7], v[8:11]// 000000010524: D3F30008 1C220D26
	s_mul_i32 s54, s78, s51                                    // 00000001052C: 9236334E
	s_add_u32 s69, s69, s54                                    // 000000010530: 80453645
	v_mfma_f32_16x16x32_fp8_fp8 v[12:15], a[40:41], a[0:1], 0  // 000000010534: D3F3000C 1A020128
	s_mov_b32 s70, s69                                         // 00000001053C: BEC60045
	v_mfma_f32_16x16x32_fp8_fp8 v[12:15], a[42:43], a[2:3], v[12:15]// 000000010540: D3F3000C 1C32052A
	s_mul_i32 s54, s78, s100                                   // 000000010548: 9236644E
	s_add_u32 s71, s71, s54                                    // 00000001054C: 80473647
	v_mfma_f32_16x16x32_fp8_fp8 v[12:15], a[44:45], a[4:5], v[12:15]// 000000010550: D3F3000C 1C32092C
	buffer_load_dwordx4 a[64:67], v229, s[12:15], 0 offen offset:1024// 000000010558: E05C1400 808340E5
	v_mfma_f32_16x16x32_fp8_fp8 v[12:15], a[46:47], a[6:7], v[12:15]// 000000010560: D3F3000C 1C320D2E
	v_mfma_f32_16x16x32_fp8_fp8 v[16:19], a[48:49], a[0:1], 0  // 000000010568: D3F30010 1A020130
	v_mfma_f32_16x16x32_fp8_fp8 v[16:19], a[50:51], a[2:3], v[16:19]// 000000010570: D3F30010 1C420532
	v_mfma_f32_16x16x32_fp8_fp8 v[16:19], a[52:53], a[4:5], v[16:19]// 000000010578: D3F30010 1C420934
	buffer_load_dwordx4 a[68:71], v230, s[12:15], 0 offen offset:1024// 000000010580: E05C1400 808344E6
	v_mfma_f32_16x16x32_fp8_fp8 v[16:19], a[54:55], a[6:7], v[16:19]// 000000010588: D3F30010 1C420D36
	v_mfma_f32_16x16x32_fp8_fp8 v[20:23], a[24:25], a[8:9], 0  // 000000010590: D3F30014 1A021118
	v_mfma_f32_16x16x32_fp8_fp8 v[20:23], a[26:27], a[10:11], v[20:23]// 000000010598: D3F30014 1C52151A
	v_mfma_f32_16x16x32_fp8_fp8 v[20:23], a[28:29], a[12:13], v[20:23]// 0000000105A0: D3F30014 1C52191C
	buffer_load_dwordx4 a[72:75], v229, s[12:15], 0 offen offset:2048// 0000000105A8: E05C1800 808348E5
	v_mfma_f32_16x16x32_fp8_fp8 v[20:23], a[30:31], a[14:15], v[20:23]// 0000000105B0: D3F30014 1C521D1E
	v_mfma_f32_16x16x32_fp8_fp8 v[24:27], a[32:33], a[8:9], 0  // 0000000105B8: D3F30018 1A021120
	v_mfma_f32_16x16x32_fp8_fp8 v[24:27], a[34:35], a[10:11], v[24:27]// 0000000105C0: D3F30018 1C621522
	v_mfma_f32_16x16x32_fp8_fp8 v[24:27], a[36:37], a[12:13], v[24:27]// 0000000105C8: D3F30018 1C621924
	buffer_load_dwordx4 a[76:79], v230, s[12:15], 0 offen offset:2048// 0000000105D0: E05C1800 80834CE6
	v_mfma_f32_16x16x32_fp8_fp8 v[24:27], a[38:39], a[14:15], v[24:27]// 0000000105D8: D3F30018 1C621D26
	v_mfma_f32_16x16x32_fp8_fp8 v[28:31], a[40:41], a[8:9], 0  // 0000000105E0: D3F3001C 1A021128
	v_mfma_f32_16x16x32_fp8_fp8 v[28:31], a[42:43], a[10:11], v[28:31]// 0000000105E8: D3F3001C 1C72152A
	v_mfma_f32_16x16x32_fp8_fp8 v[28:31], a[44:45], a[12:13], v[28:31]// 0000000105F0: D3F3001C 1C72192C
	buffer_load_dwordx4 a[80:83], v229, s[12:15], 0 offen offset:3072// 0000000105F8: E05C1C00 808350E5
	v_mfma_f32_16x16x32_fp8_fp8 v[28:31], a[46:47], a[14:15], v[28:31]// 000000010600: D3F3001C 1C721D2E
	v_mfma_f32_16x16x32_fp8_fp8 v[32:35], a[48:49], a[8:9], 0  // 000000010608: D3F30020 1A021130
	v_mfma_f32_16x16x32_fp8_fp8 v[32:35], a[50:51], a[10:11], v[32:35]// 000000010610: D3F30020 1C821532
	v_mfma_f32_16x16x32_fp8_fp8 v[32:35], a[52:53], a[12:13], v[32:35]// 000000010618: D3F30020 1C821934
	buffer_load_dwordx4 a[84:87], v230, s[12:15], 0 offen offset:3072// 000000010620: E05C1C00 808354E6
	v_mfma_f32_16x16x32_fp8_fp8 v[32:35], a[54:55], a[14:15], v[32:35]// 000000010628: D3F30020 1C821D36
	v_mfma_f32_16x16x32_fp8_fp8 v[36:39], a[24:25], a[16:17], 0// 000000010630: D3F30024 1A022118
	v_mfma_f32_16x16x32_fp8_fp8 v[36:39], a[26:27], a[18:19], v[36:39]// 000000010638: D3F30024 1C92251A
	v_mfma_f32_16x16x32_fp8_fp8 v[36:39], a[28:29], a[20:21], v[36:39]// 000000010640: D3F30024 1C92291C
	v_mfma_f32_16x16x32_fp8_fp8 v[36:39], a[30:31], a[22:23], v[36:39]// 000000010648: D3F30024 1C922D1E
	v_mfma_f32_16x16x32_fp8_fp8 v[40:43], a[32:33], a[16:17], 0// 000000010650: D3F30028 1A022120
	v_mfma_f32_16x16x32_fp8_fp8 v[40:43], a[34:35], a[18:19], v[40:43]// 000000010658: D3F30028 1CA22522
	v_mfma_f32_16x16x32_fp8_fp8 v[40:43], a[36:37], a[20:21], v[40:43]// 000000010660: D3F30028 1CA22924
	v_mfma_f32_16x16x32_fp8_fp8 v[40:43], a[38:39], a[22:23], v[40:43]// 000000010668: D3F30028 1CA22D26
	v_mfma_f32_16x16x32_fp8_fp8 v[44:47], a[40:41], a[16:17], 0// 000000010670: D3F3002C 1A022128
	v_mfma_f32_16x16x32_fp8_fp8 v[44:47], a[42:43], a[18:19], v[44:47]// 000000010678: D3F3002C 1CB2252A
	v_mfma_f32_16x16x32_fp8_fp8 v[44:47], a[44:45], a[20:21], v[44:47]// 000000010680: D3F3002C 1CB2292C
	v_mfma_f32_16x16x32_fp8_fp8 v[44:47], a[46:47], a[22:23], v[44:47]// 000000010688: D3F3002C 1CB22D2E
	v_mfma_f32_16x16x32_fp8_fp8 v[48:51], a[48:49], a[16:17], 0// 000000010690: D3F30030 1A022130
	v_mfma_f32_16x16x32_fp8_fp8 v[48:51], a[50:51], a[18:19], v[48:51]// 000000010698: D3F30030 1CC22532
	v_mfma_f32_16x16x32_fp8_fp8 v[48:51], a[52:53], a[20:21], v[48:51]// 0000000106A0: D3F30030 1CC22934
	v_mfma_f32_16x16x32_fp8_fp8 v[48:51], a[54:55], a[22:23], v[48:51]// 0000000106A8: D3F30030 1CC22D36
	s_waitcnt vmcnt(16)                                        // 0000000106B0: BF8C4F70
	v_pk_mul_f32 v[4:5], v[148:149], v[4:5]                    // 0000000106B4: D3B14004 18020994
	v_pk_mul_f32 v[6:7], v[148:149], v[6:7]                    // 0000000106BC: D3B14006 18020D94
	v_mul_f32_dpp v4, v154, v4 row_newbcast:0 row_mask:0xf bank_mask:0xf// 0000000106C4: 0A0808FA FF01509A
	v_mul_f32_dpp v5, v154, v5 row_newbcast:1 row_mask:0xf bank_mask:0xf// 0000000106CC: 0A0A0AFA FF01519A
	v_mul_f32_dpp v6, v154, v6 row_newbcast:2 row_mask:0xf bank_mask:0xf// 0000000106D4: 0A0C0CFA FF01529A
	v_mul_f32_dpp v7, v154, v7 row_newbcast:3 row_mask:0xf bank_mask:0xf// 0000000106DC: 0A0E0EFA FF01539A
	v_pk_mul_f32 v[8:9], v[148:149], v[8:9]                    // 0000000106E4: D3B14008 18021194
	v_pk_mul_f32 v[10:11], v[148:149], v[10:11]                // 0000000106EC: D3B1400A 18021594
	v_mul_f32_dpp v8, v154, v8 row_newbcast:4 row_mask:0xf bank_mask:0xf// 0000000106F4: 0A1010FA FF01549A
	v_mul_f32_dpp v9, v154, v9 row_newbcast:5 row_mask:0xf bank_mask:0xf// 0000000106FC: 0A1212FA FF01559A
	v_mul_f32_dpp v10, v154, v10 row_newbcast:6 row_mask:0xf bank_mask:0xf// 000000010704: 0A1414FA FF01569A
	v_mul_f32_dpp v11, v154, v11 row_newbcast:7 row_mask:0xf bank_mask:0xf// 00000001070C: 0A1616FA FF01579A
	v_pk_mul_f32 v[12:13], v[148:149], v[12:13]                // 000000010714: D3B1400C 18021994
	v_pk_mul_f32 v[14:15], v[148:149], v[14:15]                // 00000001071C: D3B1400E 18021D94
	v_mul_f32_dpp v12, v154, v12 row_newbcast:8 row_mask:0xf bank_mask:0xf// 000000010724: 0A1818FA FF01589A
	v_mul_f32_dpp v13, v154, v13 row_newbcast:9 row_mask:0xf bank_mask:0xf// 00000001072C: 0A1A1AFA FF01599A
	v_mul_f32_dpp v14, v154, v14 row_newbcast:10 row_mask:0xf bank_mask:0xf// 000000010734: 0A1C1CFA FF015A9A
	v_mul_f32_dpp v15, v154, v15 row_newbcast:11 row_mask:0xf bank_mask:0xf// 00000001073C: 0A1E1EFA FF015B9A
	v_pk_mul_f32 v[16:17], v[148:149], v[16:17]                // 000000010744: D3B14010 18022194
	v_pk_mul_f32 v[18:19], v[148:149], v[18:19]                // 00000001074C: D3B14012 18022594
	v_mul_f32_dpp v16, v154, v16 row_newbcast:12 row_mask:0xf bank_mask:0xf// 000000010754: 0A2020FA FF015C9A
	v_mul_f32_dpp v17, v154, v17 row_newbcast:13 row_mask:0xf bank_mask:0xf// 00000001075C: 0A2222FA FF015D9A
	v_mul_f32_dpp v18, v154, v18 row_newbcast:14 row_mask:0xf bank_mask:0xf// 000000010764: 0A2424FA FF015E9A
	v_mul_f32_dpp v19, v154, v19 row_newbcast:15 row_mask:0xf bank_mask:0xf// 00000001076C: 0A2626FA FF015F9A
	v_pk_mul_f32 v[20:21], v[150:151], v[20:21]                // 000000010774: D3B14014 18022996
	v_pk_mul_f32 v[22:23], v[150:151], v[22:23]                // 00000001077C: D3B14016 18022D96
	v_mul_f32_dpp v20, v154, v20 row_newbcast:0 row_mask:0xf bank_mask:0xf// 000000010784: 0A2828FA FF01509A
	v_mul_f32_dpp v21, v154, v21 row_newbcast:1 row_mask:0xf bank_mask:0xf// 00000001078C: 0A2A2AFA FF01519A
	v_mul_f32_dpp v22, v154, v22 row_newbcast:2 row_mask:0xf bank_mask:0xf// 000000010794: 0A2C2CFA FF01529A
	v_mul_f32_dpp v23, v154, v23 row_newbcast:3 row_mask:0xf bank_mask:0xf// 00000001079C: 0A2E2EFA FF01539A
	v_pk_mul_f32 v[24:25], v[150:151], v[24:25]                // 0000000107A4: D3B14018 18023196
	v_pk_mul_f32 v[26:27], v[150:151], v[26:27]                // 0000000107AC: D3B1401A 18023596
	v_mul_f32_dpp v24, v154, v24 row_newbcast:4 row_mask:0xf bank_mask:0xf// 0000000107B4: 0A3030FA FF01549A
	v_mul_f32_dpp v25, v154, v25 row_newbcast:5 row_mask:0xf bank_mask:0xf// 0000000107BC: 0A3232FA FF01559A
	v_mul_f32_dpp v26, v154, v26 row_newbcast:6 row_mask:0xf bank_mask:0xf// 0000000107C4: 0A3434FA FF01569A
	v_mul_f32_dpp v27, v154, v27 row_newbcast:7 row_mask:0xf bank_mask:0xf// 0000000107CC: 0A3636FA FF01579A
	v_pk_mul_f32 v[28:29], v[150:151], v[28:29]                // 0000000107D4: D3B1401C 18023996
	v_pk_mul_f32 v[30:31], v[150:151], v[30:31]                // 0000000107DC: D3B1401E 18023D96
	v_mul_f32_dpp v28, v154, v28 row_newbcast:8 row_mask:0xf bank_mask:0xf// 0000000107E4: 0A3838FA FF01589A
	v_mul_f32_dpp v29, v154, v29 row_newbcast:9 row_mask:0xf bank_mask:0xf// 0000000107EC: 0A3A3AFA FF01599A
	v_mul_f32_dpp v30, v154, v30 row_newbcast:10 row_mask:0xf bank_mask:0xf// 0000000107F4: 0A3C3CFA FF015A9A
	v_mul_f32_dpp v31, v154, v31 row_newbcast:11 row_mask:0xf bank_mask:0xf// 0000000107FC: 0A3E3EFA FF015B9A
	v_pk_mul_f32 v[32:33], v[150:151], v[32:33]                // 000000010804: D3B14020 18024196
	v_pk_mul_f32 v[34:35], v[150:151], v[34:35]                // 00000001080C: D3B14022 18024596
	v_mul_f32_dpp v32, v154, v32 row_newbcast:12 row_mask:0xf bank_mask:0xf// 000000010814: 0A4040FA FF015C9A
	v_mul_f32_dpp v33, v154, v33 row_newbcast:13 row_mask:0xf bank_mask:0xf// 00000001081C: 0A4242FA FF015D9A
	v_mul_f32_dpp v34, v154, v34 row_newbcast:14 row_mask:0xf bank_mask:0xf// 000000010824: 0A4444FA FF015E9A
	v_mul_f32_dpp v35, v154, v35 row_newbcast:15 row_mask:0xf bank_mask:0xf// 00000001082C: 0A4646FA FF015F9A
	v_pk_mul_f32 v[36:37], v[152:153], v[36:37]                // 000000010834: D3B14024 18024998
	v_pk_mul_f32 v[38:39], v[152:153], v[38:39]                // 00000001083C: D3B14026 18024D98
	v_mul_f32_dpp v36, v154, v36 row_newbcast:0 row_mask:0xf bank_mask:0xf// 000000010844: 0A4848FA FF01509A
	v_mul_f32_dpp v37, v154, v37 row_newbcast:1 row_mask:0xf bank_mask:0xf// 00000001084C: 0A4A4AFA FF01519A
	v_mul_f32_dpp v38, v154, v38 row_newbcast:2 row_mask:0xf bank_mask:0xf// 000000010854: 0A4C4CFA FF01529A
	v_mul_f32_dpp v39, v154, v39 row_newbcast:3 row_mask:0xf bank_mask:0xf// 00000001085C: 0A4E4EFA FF01539A
	v_pk_mul_f32 v[40:41], v[152:153], v[40:41]                // 000000010864: D3B14028 18025198
	v_pk_mul_f32 v[42:43], v[152:153], v[42:43]                // 00000001086C: D3B1402A 18025598
	v_mul_f32_dpp v40, v154, v40 row_newbcast:4 row_mask:0xf bank_mask:0xf// 000000010874: 0A5050FA FF01549A
	v_mul_f32_dpp v41, v154, v41 row_newbcast:5 row_mask:0xf bank_mask:0xf// 00000001087C: 0A5252FA FF01559A
	v_mul_f32_dpp v42, v154, v42 row_newbcast:6 row_mask:0xf bank_mask:0xf// 000000010884: 0A5454FA FF01569A
	v_mul_f32_dpp v43, v154, v43 row_newbcast:7 row_mask:0xf bank_mask:0xf// 00000001088C: 0A5656FA FF01579A
	v_pk_mul_f32 v[44:45], v[152:153], v[44:45]                // 000000010894: D3B1402C 18025998
	v_pk_mul_f32 v[46:47], v[152:153], v[46:47]                // 00000001089C: D3B1402E 18025D98
	v_mul_f32_dpp v44, v154, v44 row_newbcast:8 row_mask:0xf bank_mask:0xf// 0000000108A4: 0A5858FA FF01589A
	v_mul_f32_dpp v45, v154, v45 row_newbcast:9 row_mask:0xf bank_mask:0xf// 0000000108AC: 0A5A5AFA FF01599A
	v_mul_f32_dpp v46, v154, v46 row_newbcast:10 row_mask:0xf bank_mask:0xf// 0000000108B4: 0A5C5CFA FF015A9A
	v_mul_f32_dpp v47, v154, v47 row_newbcast:11 row_mask:0xf bank_mask:0xf// 0000000108BC: 0A5E5EFA FF015B9A
	v_pk_mul_f32 v[48:49], v[152:153], v[48:49]                // 0000000108C4: D3B14030 18026198
	v_pk_mul_f32 v[50:51], v[152:153], v[50:51]                // 0000000108CC: D3B14032 18026598
	v_mul_f32_dpp v48, v154, v48 row_newbcast:12 row_mask:0xf bank_mask:0xf// 0000000108D4: 0A6060FA FF015C9A
	v_mul_f32_dpp v49, v154, v49 row_newbcast:13 row_mask:0xf bank_mask:0xf// 0000000108DC: 0A6262FA FF015D9A
	v_mul_f32_dpp v50, v154, v50 row_newbcast:14 row_mask:0xf bank_mask:0xf// 0000000108E4: 0A6464FA FF015E9A
	v_mul_f32_dpp v51, v154, v51 row_newbcast:15 row_mask:0xf bank_mask:0xf// 0000000108EC: 0A6666FA FF015F9A
	v_add_u32_e32 v204, s64, v221                              // 0000000108F4: 6999BA40
	v_add_u32_e32 v205, 0, v204                                // 0000000108F8: 699B9880
	v_cmp_lt_u32_e64 s[98:99], v205, v218                      // 0000000108FC: D0C90062 0003B5CD
	s_nop 0                                                    // 000000010904: BF800000
	v_cndmask_b32_e64 v4, v222, v4, s[98:99]                   // 000000010908: D1000004 018A09DE
	v_add_u32_e32 v205, 1, v204                                // 000000010910: 699B9881
	v_cmp_lt_u32_e64 s[98:99], v205, v218                      // 000000010914: D0C90062 0003B5CD
	s_nop 0                                                    // 00000001091C: BF800000
	v_cndmask_b32_e64 v5, v222, v5, s[98:99]                   // 000000010920: D1000005 018A0BDE
	v_add_u32_e32 v205, 2, v204                                // 000000010928: 699B9882
	v_cmp_lt_u32_e64 s[98:99], v205, v218                      // 00000001092C: D0C90062 0003B5CD
	s_nop 0                                                    // 000000010934: BF800000
	v_cndmask_b32_e64 v6, v222, v6, s[98:99]                   // 000000010938: D1000006 018A0DDE
	v_add_u32_e32 v205, 3, v204                                // 000000010940: 699B9883
	v_cmp_lt_u32_e64 s[98:99], v205, v218                      // 000000010944: D0C90062 0003B5CD
	s_nop 0                                                    // 00000001094C: BF800000
	v_cndmask_b32_e64 v7, v222, v7, s[98:99]                   // 000000010950: D1000007 018A0FDE
	v_add_u32_e32 v205, 64, v204                               // 000000010958: 699B98C0
	v_cmp_lt_u32_e64 s[98:99], v205, v218                      // 00000001095C: D0C90062 0003B5CD
	s_nop 0                                                    // 000000010964: BF800000
	v_cndmask_b32_e64 v8, v222, v8, s[98:99]                   // 000000010968: D1000008 018A11DE
	v_add_u32_e32 v205, 0x41, v204                             // 000000010970: 699B98FF 00000041
	v_cmp_lt_u32_e64 s[98:99], v205, v218                      // 000000010978: D0C90062 0003B5CD
	s_nop 0                                                    // 000000010980: BF800000
	v_cndmask_b32_e64 v9, v222, v9, s[98:99]                   // 000000010984: D1000009 018A13DE
	v_add_u32_e32 v205, 0x42, v204                             // 00000001098C: 699B98FF 00000042
	v_cmp_lt_u32_e64 s[98:99], v205, v218                      // 000000010994: D0C90062 0003B5CD
	s_nop 0                                                    // 00000001099C: BF800000
	v_cndmask_b32_e64 v10, v222, v10, s[98:99]                 // 0000000109A0: D100000A 018A15DE
	v_add_u32_e32 v205, 0x43, v204                             // 0000000109A8: 699B98FF 00000043
	v_cmp_lt_u32_e64 s[98:99], v205, v218                      // 0000000109B0: D0C90062 0003B5CD
	s_nop 0                                                    // 0000000109B8: BF800000
	v_cndmask_b32_e64 v11, v222, v11, s[98:99]                 // 0000000109BC: D100000B 018A17DE
	v_add_u32_e32 v205, 0x80, v204                             // 0000000109C4: 699B98FF 00000080
	v_cmp_lt_u32_e64 s[98:99], v205, v218                      // 0000000109CC: D0C90062 0003B5CD
	s_nop 0                                                    // 0000000109D4: BF800000
	v_cndmask_b32_e64 v12, v222, v12, s[98:99]                 // 0000000109D8: D100000C 018A19DE
	v_add_u32_e32 v205, 0x81, v204                             // 0000000109E0: 699B98FF 00000081
	v_cmp_lt_u32_e64 s[98:99], v205, v218                      // 0000000109E8: D0C90062 0003B5CD
	s_nop 0                                                    // 0000000109F0: BF800000
	v_cndmask_b32_e64 v13, v222, v13, s[98:99]                 // 0000000109F4: D100000D 018A1BDE
	v_add_u32_e32 v205, 0x82, v204                             // 0000000109FC: 699B98FF 00000082
	v_cmp_lt_u32_e64 s[98:99], v205, v218                      // 000000010A04: D0C90062 0003B5CD
	s_nop 0                                                    // 000000010A0C: BF800000
	v_cndmask_b32_e64 v14, v222, v14, s[98:99]                 // 000000010A10: D100000E 018A1DDE
	v_add_u32_e32 v205, 0x83, v204                             // 000000010A18: 699B98FF 00000083
	v_cmp_lt_u32_e64 s[98:99], v205, v218                      // 000000010A20: D0C90062 0003B5CD
	s_nop 0                                                    // 000000010A28: BF800000
	v_cndmask_b32_e64 v15, v222, v15, s[98:99]                 // 000000010A2C: D100000F 018A1FDE
	v_add_u32_e32 v205, 0xc0, v204                             // 000000010A34: 699B98FF 000000C0
	v_cmp_lt_u32_e64 s[98:99], v205, v218                      // 000000010A3C: D0C90062 0003B5CD
	s_nop 0                                                    // 000000010A44: BF800000
	v_cndmask_b32_e64 v16, v222, v16, s[98:99]                 // 000000010A48: D1000010 018A21DE
	v_add_u32_e32 v205, 0xc1, v204                             // 000000010A50: 699B98FF 000000C1
	v_cmp_lt_u32_e64 s[98:99], v205, v218                      // 000000010A58: D0C90062 0003B5CD
	s_nop 0                                                    // 000000010A60: BF800000
	v_cndmask_b32_e64 v17, v222, v17, s[98:99]                 // 000000010A64: D1000011 018A23DE
	v_add_u32_e32 v205, 0xc2, v204                             // 000000010A6C: 699B98FF 000000C2
	v_cmp_lt_u32_e64 s[98:99], v205, v218                      // 000000010A74: D0C90062 0003B5CD
	s_nop 0                                                    // 000000010A7C: BF800000
	v_cndmask_b32_e64 v18, v222, v18, s[98:99]                 // 000000010A80: D1000012 018A25DE
	v_add_u32_e32 v205, 0xc3, v204                             // 000000010A88: 699B98FF 000000C3
	v_cmp_lt_u32_e64 s[98:99], v205, v218                      // 000000010A90: D0C90062 0003B5CD
	s_nop 0                                                    // 000000010A98: BF800000
	v_cndmask_b32_e64 v19, v222, v19, s[98:99]                 // 000000010A9C: D1000013 018A27DE
	v_add_u32_e32 v205, 0, v204                                // 000000010AA4: 699B9880
	v_cmp_lt_u32_e64 s[98:99], v205, v219                      // 000000010AA8: D0C90062 0003B7CD
	s_nop 0                                                    // 000000010AB0: BF800000
	v_cndmask_b32_e64 v20, v222, v20, s[98:99]                 // 000000010AB4: D1000014 018A29DE
	v_add_u32_e32 v205, 1, v204                                // 000000010ABC: 699B9881
	v_cmp_lt_u32_e64 s[98:99], v205, v219                      // 000000010AC0: D0C90062 0003B7CD
	s_nop 0                                                    // 000000010AC8: BF800000
	v_cndmask_b32_e64 v21, v222, v21, s[98:99]                 // 000000010ACC: D1000015 018A2BDE
	v_add_u32_e32 v205, 2, v204                                // 000000010AD4: 699B9882
	v_cmp_lt_u32_e64 s[98:99], v205, v219                      // 000000010AD8: D0C90062 0003B7CD
	s_nop 0                                                    // 000000010AE0: BF800000
	v_cndmask_b32_e64 v22, v222, v22, s[98:99]                 // 000000010AE4: D1000016 018A2DDE
	v_add_u32_e32 v205, 3, v204                                // 000000010AEC: 699B9883
	v_cmp_lt_u32_e64 s[98:99], v205, v219                      // 000000010AF0: D0C90062 0003B7CD
	s_nop 0                                                    // 000000010AF8: BF800000
	v_cndmask_b32_e64 v23, v222, v23, s[98:99]                 // 000000010AFC: D1000017 018A2FDE
	v_add_u32_e32 v205, 64, v204                               // 000000010B04: 699B98C0
	v_cmp_lt_u32_e64 s[98:99], v205, v219                      // 000000010B08: D0C90062 0003B7CD
	s_nop 0                                                    // 000000010B10: BF800000
	v_cndmask_b32_e64 v24, v222, v24, s[98:99]                 // 000000010B14: D1000018 018A31DE
	v_add_u32_e32 v205, 0x41, v204                             // 000000010B1C: 699B98FF 00000041
	v_cmp_lt_u32_e64 s[98:99], v205, v219                      // 000000010B24: D0C90062 0003B7CD
	s_nop 0                                                    // 000000010B2C: BF800000
	v_cndmask_b32_e64 v25, v222, v25, s[98:99]                 // 000000010B30: D1000019 018A33DE
	v_add_u32_e32 v205, 0x42, v204                             // 000000010B38: 699B98FF 00000042
	v_cmp_lt_u32_e64 s[98:99], v205, v219                      // 000000010B40: D0C90062 0003B7CD
	s_nop 0                                                    // 000000010B48: BF800000
	v_cndmask_b32_e64 v26, v222, v26, s[98:99]                 // 000000010B4C: D100001A 018A35DE
	v_add_u32_e32 v205, 0x43, v204                             // 000000010B54: 699B98FF 00000043
	v_cmp_lt_u32_e64 s[98:99], v205, v219                      // 000000010B5C: D0C90062 0003B7CD
	s_nop 0                                                    // 000000010B64: BF800000
	v_cndmask_b32_e64 v27, v222, v27, s[98:99]                 // 000000010B68: D100001B 018A37DE
	v_add_u32_e32 v205, 0x80, v204                             // 000000010B70: 699B98FF 00000080
	v_cmp_lt_u32_e64 s[98:99], v205, v219                      // 000000010B78: D0C90062 0003B7CD
	s_nop 0                                                    // 000000010B80: BF800000
	v_cndmask_b32_e64 v28, v222, v28, s[98:99]                 // 000000010B84: D100001C 018A39DE
	v_add_u32_e32 v205, 0x81, v204                             // 000000010B8C: 699B98FF 00000081
	v_cmp_lt_u32_e64 s[98:99], v205, v219                      // 000000010B94: D0C90062 0003B7CD
	s_nop 0                                                    // 000000010B9C: BF800000
	v_cndmask_b32_e64 v29, v222, v29, s[98:99]                 // 000000010BA0: D100001D 018A3BDE
	v_add_u32_e32 v205, 0x82, v204                             // 000000010BA8: 699B98FF 00000082
	v_cmp_lt_u32_e64 s[98:99], v205, v219                      // 000000010BB0: D0C90062 0003B7CD
	s_nop 0                                                    // 000000010BB8: BF800000
	v_cndmask_b32_e64 v30, v222, v30, s[98:99]                 // 000000010BBC: D100001E 018A3DDE
	v_add_u32_e32 v205, 0x83, v204                             // 000000010BC4: 699B98FF 00000083
	v_cmp_lt_u32_e64 s[98:99], v205, v219                      // 000000010BCC: D0C90062 0003B7CD
	s_nop 0                                                    // 000000010BD4: BF800000
	v_cndmask_b32_e64 v31, v222, v31, s[98:99]                 // 000000010BD8: D100001F 018A3FDE
	v_add_u32_e32 v205, 0xc0, v204                             // 000000010BE0: 699B98FF 000000C0
	v_cmp_lt_u32_e64 s[98:99], v205, v219                      // 000000010BE8: D0C90062 0003B7CD
	s_nop 0                                                    // 000000010BF0: BF800000
	v_cndmask_b32_e64 v32, v222, v32, s[98:99]                 // 000000010BF4: D1000020 018A41DE
	v_add_u32_e32 v205, 0xc1, v204                             // 000000010BFC: 699B98FF 000000C1
	v_cmp_lt_u32_e64 s[98:99], v205, v219                      // 000000010C04: D0C90062 0003B7CD
	s_nop 0                                                    // 000000010C0C: BF800000
	v_cndmask_b32_e64 v33, v222, v33, s[98:99]                 // 000000010C10: D1000021 018A43DE
	v_add_u32_e32 v205, 0xc2, v204                             // 000000010C18: 699B98FF 000000C2
	v_cmp_lt_u32_e64 s[98:99], v205, v219                      // 000000010C20: D0C90062 0003B7CD
	s_nop 0                                                    // 000000010C28: BF800000
	v_cndmask_b32_e64 v34, v222, v34, s[98:99]                 // 000000010C2C: D1000022 018A45DE
	v_add_u32_e32 v205, 0xc3, v204                             // 000000010C34: 699B98FF 000000C3
	v_cmp_lt_u32_e64 s[98:99], v205, v219                      // 000000010C3C: D0C90062 0003B7CD
	s_nop 0                                                    // 000000010C44: BF800000
	v_cndmask_b32_e64 v35, v222, v35, s[98:99]                 // 000000010C48: D1000023 018A47DE
	v_add_u32_e32 v205, 0, v204                                // 000000010C50: 699B9880
	v_cmp_lt_u32_e64 s[98:99], v205, v220                      // 000000010C54: D0C90062 0003B9CD
	s_nop 0                                                    // 000000010C5C: BF800000
	v_cndmask_b32_e64 v36, v222, v36, s[98:99]                 // 000000010C60: D1000024 018A49DE
	v_add_u32_e32 v205, 1, v204                                // 000000010C68: 699B9881
	v_cmp_lt_u32_e64 s[98:99], v205, v220                      // 000000010C6C: D0C90062 0003B9CD
	s_nop 0                                                    // 000000010C74: BF800000
	v_cndmask_b32_e64 v37, v222, v37, s[98:99]                 // 000000010C78: D1000025 018A4BDE
	v_add_u32_e32 v205, 2, v204                                // 000000010C80: 699B9882
	v_cmp_lt_u32_e64 s[98:99], v205, v220                      // 000000010C84: D0C90062 0003B9CD
	s_nop 0                                                    // 000000010C8C: BF800000
	v_cndmask_b32_e64 v38, v222, v38, s[98:99]                 // 000000010C90: D1000026 018A4DDE
	v_add_u32_e32 v205, 3, v204                                // 000000010C98: 699B9883
	v_cmp_lt_u32_e64 s[98:99], v205, v220                      // 000000010C9C: D0C90062 0003B9CD
	s_nop 0                                                    // 000000010CA4: BF800000
	v_cndmask_b32_e64 v39, v222, v39, s[98:99]                 // 000000010CA8: D1000027 018A4FDE
	v_add_u32_e32 v205, 64, v204                               // 000000010CB0: 699B98C0
	v_cmp_lt_u32_e64 s[98:99], v205, v220                      // 000000010CB4: D0C90062 0003B9CD
	s_nop 0                                                    // 000000010CBC: BF800000
	v_cndmask_b32_e64 v40, v222, v40, s[98:99]                 // 000000010CC0: D1000028 018A51DE
	v_add_u32_e32 v205, 0x41, v204                             // 000000010CC8: 699B98FF 00000041
	v_cmp_lt_u32_e64 s[98:99], v205, v220                      // 000000010CD0: D0C90062 0003B9CD
	s_nop 0                                                    // 000000010CD8: BF800000
	v_cndmask_b32_e64 v41, v222, v41, s[98:99]                 // 000000010CDC: D1000029 018A53DE
	v_add_u32_e32 v205, 0x42, v204                             // 000000010CE4: 699B98FF 00000042
	v_cmp_lt_u32_e64 s[98:99], v205, v220                      // 000000010CEC: D0C90062 0003B9CD
	s_nop 0                                                    // 000000010CF4: BF800000
	v_cndmask_b32_e64 v42, v222, v42, s[98:99]                 // 000000010CF8: D100002A 018A55DE
	v_add_u32_e32 v205, 0x43, v204                             // 000000010D00: 699B98FF 00000043
	v_cmp_lt_u32_e64 s[98:99], v205, v220                      // 000000010D08: D0C90062 0003B9CD
	s_nop 0                                                    // 000000010D10: BF800000
	v_cndmask_b32_e64 v43, v222, v43, s[98:99]                 // 000000010D14: D100002B 018A57DE
	v_add_u32_e32 v205, 0x80, v204                             // 000000010D1C: 699B98FF 00000080
	v_cmp_lt_u32_e64 s[98:99], v205, v220                      // 000000010D24: D0C90062 0003B9CD
	s_nop 0                                                    // 000000010D2C: BF800000
	v_cndmask_b32_e64 v44, v222, v44, s[98:99]                 // 000000010D30: D100002C 018A59DE
	v_add_u32_e32 v205, 0x81, v204                             // 000000010D38: 699B98FF 00000081
	v_cmp_lt_u32_e64 s[98:99], v205, v220                      // 000000010D40: D0C90062 0003B9CD
	s_nop 0                                                    // 000000010D48: BF800000
	v_cndmask_b32_e64 v45, v222, v45, s[98:99]                 // 000000010D4C: D100002D 018A5BDE
	v_add_u32_e32 v205, 0x82, v204                             // 000000010D54: 699B98FF 00000082
	v_cmp_lt_u32_e64 s[98:99], v205, v220                      // 000000010D5C: D0C90062 0003B9CD
	s_nop 0                                                    // 000000010D64: BF800000
	v_cndmask_b32_e64 v46, v222, v46, s[98:99]                 // 000000010D68: D100002E 018A5DDE
	v_add_u32_e32 v205, 0x83, v204                             // 000000010D70: 699B98FF 00000083
	v_cmp_lt_u32_e64 s[98:99], v205, v220                      // 000000010D78: D0C90062 0003B9CD
	s_nop 0                                                    // 000000010D80: BF800000
	v_cndmask_b32_e64 v47, v222, v47, s[98:99]                 // 000000010D84: D100002F 018A5FDE
	v_add_u32_e32 v205, 0xc0, v204                             // 000000010D8C: 699B98FF 000000C0
	v_cmp_lt_u32_e64 s[98:99], v205, v220                      // 000000010D94: D0C90062 0003B9CD
	s_nop 0                                                    // 000000010D9C: BF800000
	v_cndmask_b32_e64 v48, v222, v48, s[98:99]                 // 000000010DA0: D1000030 018A61DE
	v_add_u32_e32 v205, 0xc1, v204                             // 000000010DA8: 699B98FF 000000C1
	v_cmp_lt_u32_e64 s[98:99], v205, v220                      // 000000010DB0: D0C90062 0003B9CD
	s_nop 0                                                    // 000000010DB8: BF800000
	v_cndmask_b32_e64 v49, v222, v49, s[98:99]                 // 000000010DBC: D1000031 018A63DE
	v_add_u32_e32 v205, 0xc2, v204                             // 000000010DC4: 699B98FF 000000C2
	v_cmp_lt_u32_e64 s[98:99], v205, v220                      // 000000010DCC: D0C90062 0003B9CD
	s_nop 0                                                    // 000000010DD4: BF800000
	v_cndmask_b32_e64 v50, v222, v50, s[98:99]                 // 000000010DD8: D1000032 018A65DE
	v_add_u32_e32 v205, 0xc3, v204                             // 000000010DE0: 699B98FF 000000C3
	v_cmp_lt_u32_e64 s[98:99], v205, v220                      // 000000010DE8: D0C90062 0003B9CD
	s_nop 0                                                    // 000000010DF0: BF800000
	v_cndmask_b32_e64 v51, v222, v51, s[98:99]                 // 000000010DF4: D1000033 018A67DE
	v_mov_b32_e32 v182, v4                                     // 000000010DFC: 7F6C0304
	v_max3_f32 v182, v4, v5, v182                              // 000000010E00: D1D300B6 06DA0B04
	v_max3_f32 v182, v6, v7, v182                              // 000000010E08: D1D300B6 06DA0F06
	v_max3_f32 v182, v8, v9, v182                              // 000000010E10: D1D300B6 06DA1308
	v_max3_f32 v182, v10, v11, v182                            // 000000010E18: D1D300B6 06DA170A
	v_max3_f32 v182, v12, v13, v182                            // 000000010E20: D1D300B6 06DA1B0C
	v_max3_f32 v182, v14, v15, v182                            // 000000010E28: D1D300B6 06DA1F0E
	v_max3_f32 v182, v16, v17, v182                            // 000000010E30: D1D300B6 06DA2310
	v_max3_f32 v182, v18, v19, v182                            // 000000010E38: D1D300B6 06DA2712
	v_mov_b32_e32 v183, v20                                    // 000000010E40: 7F6E0314
	v_max3_f32 v183, v20, v21, v183                            // 000000010E44: D1D300B7 06DE2B14
	v_max3_f32 v183, v22, v23, v183                            // 000000010E4C: D1D300B7 06DE2F16
	v_max3_f32 v183, v24, v25, v183                            // 000000010E54: D1D300B7 06DE3318
	v_max3_f32 v183, v26, v27, v183                            // 000000010E5C: D1D300B7 06DE371A
	v_max3_f32 v183, v28, v29, v183                            // 000000010E64: D1D300B7 06DE3B1C
	v_max3_f32 v183, v30, v31, v183                            // 000000010E6C: D1D300B7 06DE3F1E
	v_max3_f32 v183, v32, v33, v183                            // 000000010E74: D1D300B7 06DE4320
	v_max3_f32 v183, v34, v35, v183                            // 000000010E7C: D1D300B7 06DE4722
	v_mov_b32_e32 v184, v36                                    // 000000010E84: 7F700324
	v_max3_f32 v184, v36, v37, v184                            // 000000010E88: D1D300B8 06E24B24
	v_max3_f32 v184, v38, v39, v184                            // 000000010E90: D1D300B8 06E24F26
	v_max3_f32 v184, v40, v41, v184                            // 000000010E98: D1D300B8 06E25328
	v_max3_f32 v184, v42, v43, v184                            // 000000010EA0: D1D300B8 06E2572A
	v_max3_f32 v184, v44, v45, v184                            // 000000010EA8: D1D300B8 06E25B2C
	v_max3_f32 v184, v46, v47, v184                            // 000000010EB0: D1D300B8 06E25F2E
	v_max3_f32 v184, v48, v49, v184                            // 000000010EB8: D1D300B8 06E26330
	v_max3_f32 v184, v50, v51, v184                            // 000000010EC0: D1D300B8 06E26732
	ds_bpermute_b32 v188, v208, v182                           // 000000010EC8: D87E0000 BC00B6D0
	ds_bpermute_b32 v189, v209, v182                           // 000000010ED0: D87E0000 BD00B6D1
	ds_bpermute_b32 v190, v210, v182                           // 000000010ED8: D87E0000 BE00B6D2
	ds_bpermute_b32 v191, v208, v183                           // 000000010EE0: D87E0000 BF00B7D0
	ds_bpermute_b32 v192, v209, v183                           // 000000010EE8: D87E0000 C000B7D1
	ds_bpermute_b32 v193, v210, v183                           // 000000010EF0: D87E0000 C100B7D2
	ds_bpermute_b32 v194, v208, v184                           // 000000010EF8: D87E0000 C200B8D0
	ds_bpermute_b32 v195, v209, v184                           // 000000010F00: D87E0000 C300B8D1
	ds_bpermute_b32 v196, v210, v184                           // 000000010F08: D87E0000 C400B8D2
	v_pk_mul_f32 v[124:125], v[170:171], v[124:125]            // 000000010F10: D3B1407C 1802F9AA
	v_pk_mul_f32 v[126:127], v[170:171], v[126:127]            // 000000010F18: D3B1407E 1802FDAA
	v_pk_mul_f32 v[128:129], v[170:171], v[128:129]            // 000000010F20: D3B14080 180301AA
	v_pk_mul_f32 v[130:131], v[170:171], v[130:131]            // 000000010F28: D3B14082 180305AA
	v_pk_mul_f32 v[132:133], v[172:173], v[132:133]            // 000000010F30: D3B14084 180309AC
	v_pk_mul_f32 v[134:135], v[172:173], v[134:135]            // 000000010F38: D3B14086 18030DAC
	v_pk_mul_f32 v[136:137], v[172:173], v[136:137]            // 000000010F40: D3B14088 180311AC
	v_pk_mul_f32 v[138:139], v[172:173], v[138:139]            // 000000010F48: D3B1408A 180315AC
	v_pk_mul_f32 v[140:141], v[174:175], v[140:141]            // 000000010F50: D3B1408C 180319AE
	v_pk_mul_f32 v[142:143], v[174:175], v[142:143]            // 000000010F58: D3B1408E 18031DAE
	v_pk_mul_f32 v[144:145], v[174:175], v[144:145]            // 000000010F60: D3B14090 180321AE
	v_pk_mul_f32 v[146:147], v[174:175], v[146:147]            // 000000010F68: D3B14092 180325AE
	s_waitcnt lgkmcnt(6)                                       // 000000010F70: BF8CC67F
	v_max3_f32 v182, v188, v189, v182                          // 000000010F74: D1D300B6 06DB7BBC
	v_max_f32_e32 v182, v190, v182                             // 000000010F7C: 176D6DBE
	s_waitcnt lgkmcnt(3)                                       // 000000010F80: BF8CC37F
	v_max3_f32 v183, v191, v192, v183                          // 000000010F84: D1D300B7 06DF81BF
	v_max_f32_e32 v183, v193, v183                             // 000000010F8C: 176F6FC1
	s_waitcnt lgkmcnt(0)                                       // 000000010F90: BF8CC07F
	v_max3_f32 v184, v194, v195, v184                          // 000000010F94: D1D300B8 06E387C2
	v_max_f32_e32 v184, v196, v184                             // 000000010F9C: 177171C4
	ds_write_b128 v249, v[182:185]                             // 000000010FA0: D9BE0000 0000B6F9
	s_waitcnt lgkmcnt(0)                                       // 000000010FA8: BF8CC07F
	s_barrier                                                  // 000000010FAC: BF8A0000
	ds_read_b128 v[188:191], v250                              // 000000010FB0: D9FE0000 BC0000FA
	ds_read_b128 v[192:195], v250 offset:256                   // 000000010FB8: D9FE0100 C00000FA
	ds_read_b128 v[196:199], v250 offset:512                   // 000000010FC0: D9FE0200 C40000FA
	ds_read_b128 v[200:203], v250 offset:768                   // 000000010FC8: D9FE0300 C80000FA
	v_pk_mul_f32 v[100:101], v[158:159], v[100:101]            // 000000010FD0: D3B14064 1802C99E
	v_pk_mul_f32 v[102:103], v[158:159], v[102:103]            // 000000010FD8: D3B14066 1802CD9E
	v_pk_mul_f32 v[104:105], v[158:159], v[104:105]            // 000000010FE0: D3B14068 1802D19E
	v_pk_mul_f32 v[106:107], v[158:159], v[106:107]            // 000000010FE8: D3B1406A 1802D59E
	v_pk_mul_f32 v[108:109], v[160:161], v[108:109]            // 000000010FF0: D3B1406C 1802D9A0
	v_pk_mul_f32 v[110:111], v[160:161], v[110:111]            // 000000010FF8: D3B1406E 1802DDA0
	v_pk_mul_f32 v[112:113], v[160:161], v[112:113]            // 000000011000: D3B14070 1802E1A0
	v_pk_mul_f32 v[114:115], v[160:161], v[114:115]            // 000000011008: D3B14072 1802E5A0
	v_pk_mul_f32 v[116:117], v[162:163], v[116:117]            // 000000011010: D3B14074 1802E9A2
	v_pk_mul_f32 v[118:119], v[162:163], v[118:119]            // 000000011018: D3B14076 1802EDA2
	v_pk_mul_f32 v[120:121], v[162:163], v[120:121]            // 000000011020: D3B14078 1802F1A2
	v_pk_mul_f32 v[122:123], v[162:163], v[122:123]            // 000000011028: D3B1407A 1802F5A2
	s_waitcnt lgkmcnt(0)                                       // 000000011030: BF8CC07F
	v_max3_f32 v182, v188, v192, v182                          // 000000011034: D1D300B6 06DB81BC
	v_max3_f32 v183, v189, v193, v183                          // 00000001103C: D1D300B7 06DF83BD
	v_max3_f32 v184, v190, v194, v184                          // 000000011044: D1D300B8 06E385BE
	v_max3_f32 v182, v196, v200, v182                          // 00000001104C: D1D300B6 06DB91C4
	v_max3_f32 v183, v197, v201, v183                          // 000000011054: D1D300B7 06DF93C5
	v_max3_f32 v184, v198, v202, v184                          // 00000001105C: D1D300B8 06E395C6
	v_max_f32_e32 v167, v182, v164                             // 000000011064: 174F49B6
	v_mul_f32_e64 v204, -s46, v167                             // 000000011068: D10500CC 20034E2E
	v_mov_b32_e32 v205, v204                                   // 000000011070: 7F9A03CC
	v_pk_fma_f32 v[4:5], v[4:5], s[46:47], v[204:205]          // 000000011074: D3B04004 1F305D04
	v_pk_fma_f32 v[6:7], v[6:7], s[46:47], v[204:205]          // 00000001107C: D3B04006 1F305D06
	v_exp_f32_e32 v4, v4                                       // 000000011084: 7E084104
	v_exp_f32_e32 v5, v5                                       // 000000011088: 7E0A4105
	v_exp_f32_e32 v6, v6                                       // 00000001108C: 7E0C4106
	v_exp_f32_e32 v7, v7                                       // 000000011090: 7E0E4107
	v_pk_fma_f32 v[8:9], v[8:9], s[46:47], v[204:205]          // 000000011094: D3B04008 1F305D08
	v_pk_fma_f32 v[10:11], v[10:11], s[46:47], v[204:205]      // 00000001109C: D3B0400A 1F305D0A
	v_exp_f32_e32 v8, v8                                       // 0000000110A4: 7E104108
	v_exp_f32_e32 v9, v9                                       // 0000000110A8: 7E124109
	v_exp_f32_e32 v10, v10                                     // 0000000110AC: 7E14410A
	v_exp_f32_e32 v11, v11                                     // 0000000110B0: 7E16410B
	v_pk_fma_f32 v[12:13], v[12:13], s[46:47], v[204:205]      // 0000000110B4: D3B0400C 1F305D0C
	v_pk_fma_f32 v[14:15], v[14:15], s[46:47], v[204:205]      // 0000000110BC: D3B0400E 1F305D0E
	v_exp_f32_e32 v12, v12                                     // 0000000110C4: 7E18410C
	v_exp_f32_e32 v13, v13                                     // 0000000110C8: 7E1A410D
	v_exp_f32_e32 v14, v14                                     // 0000000110CC: 7E1C410E
	v_exp_f32_e32 v15, v15                                     // 0000000110D0: 7E1E410F
	v_pk_fma_f32 v[16:17], v[16:17], s[46:47], v[204:205]      // 0000000110D4: D3B04010 1F305D10
	v_pk_fma_f32 v[18:19], v[18:19], s[46:47], v[204:205]      // 0000000110DC: D3B04012 1F305D12
	v_exp_f32_e32 v16, v16                                     // 0000000110E4: 7E204110
	v_exp_f32_e32 v17, v17                                     // 0000000110E8: 7E224111
	v_exp_f32_e32 v18, v18                                     // 0000000110EC: 7E244112
	v_exp_f32_e32 v19, v19                                     // 0000000110F0: 7E264113
	v_max_f32_e32 v168, v183, v165                             // 0000000110F4: 17514BB7
	v_mul_f32_e64 v204, -s46, v168                             // 0000000110F8: D10500CC 2003502E
	v_mov_b32_e32 v205, v204                                   // 000000011100: 7F9A03CC
	v_pk_fma_f32 v[20:21], v[20:21], s[46:47], v[204:205]      // 000000011104: D3B04014 1F305D14
	v_pk_fma_f32 v[22:23], v[22:23], s[46:47], v[204:205]      // 00000001110C: D3B04016 1F305D16
	v_exp_f32_e32 v20, v20                                     // 000000011114: 7E284114
	v_exp_f32_e32 v21, v21                                     // 000000011118: 7E2A4115
	v_exp_f32_e32 v22, v22                                     // 00000001111C: 7E2C4116
	v_exp_f32_e32 v23, v23                                     // 000000011120: 7E2E4117
	v_pk_fma_f32 v[24:25], v[24:25], s[46:47], v[204:205]      // 000000011124: D3B04018 1F305D18
	v_pk_fma_f32 v[26:27], v[26:27], s[46:47], v[204:205]      // 00000001112C: D3B0401A 1F305D1A
	v_exp_f32_e32 v24, v24                                     // 000000011134: 7E304118
	v_exp_f32_e32 v25, v25                                     // 000000011138: 7E324119
	v_exp_f32_e32 v26, v26                                     // 00000001113C: 7E34411A
	v_exp_f32_e32 v27, v27                                     // 000000011140: 7E36411B
	v_pk_fma_f32 v[28:29], v[28:29], s[46:47], v[204:205]      // 000000011144: D3B0401C 1F305D1C
	v_pk_fma_f32 v[30:31], v[30:31], s[46:47], v[204:205]      // 00000001114C: D3B0401E 1F305D1E
	v_exp_f32_e32 v28, v28                                     // 000000011154: 7E38411C
	v_exp_f32_e32 v29, v29                                     // 000000011158: 7E3A411D
	v_exp_f32_e32 v30, v30                                     // 00000001115C: 7E3C411E
	v_exp_f32_e32 v31, v31                                     // 000000011160: 7E3E411F
	v_pk_fma_f32 v[32:33], v[32:33], s[46:47], v[204:205]      // 000000011164: D3B04020 1F305D20
	v_pk_fma_f32 v[34:35], v[34:35], s[46:47], v[204:205]      // 00000001116C: D3B04022 1F305D22
	v_exp_f32_e32 v32, v32                                     // 000000011174: 7E404120
	v_exp_f32_e32 v33, v33                                     // 000000011178: 7E424121
	v_exp_f32_e32 v34, v34                                     // 00000001117C: 7E444122
	v_exp_f32_e32 v35, v35                                     // 000000011180: 7E464123
	v_max_f32_e32 v169, v184, v166                             // 000000011184: 17534DB8
	v_mul_f32_e64 v204, -s46, v169                             // 000000011188: D10500CC 2003522E
	v_mov_b32_e32 v205, v204                                   // 000000011190: 7F9A03CC
	v_pk_fma_f32 v[36:37], v[36:37], s[46:47], v[204:205]      // 000000011194: D3B04024 1F305D24
	v_pk_fma_f32 v[38:39], v[38:39], s[46:47], v[204:205]      // 00000001119C: D3B04026 1F305D26
	v_exp_f32_e32 v36, v36                                     // 0000000111A4: 7E484124
	v_exp_f32_e32 v37, v37                                     // 0000000111A8: 7E4A4125
	v_exp_f32_e32 v38, v38                                     // 0000000111AC: 7E4C4126
	v_exp_f32_e32 v39, v39                                     // 0000000111B0: 7E4E4127
	v_pk_fma_f32 v[40:41], v[40:41], s[46:47], v[204:205]      // 0000000111B4: D3B04028 1F305D28
	v_pk_fma_f32 v[42:43], v[42:43], s[46:47], v[204:205]      // 0000000111BC: D3B0402A 1F305D2A
	v_exp_f32_e32 v40, v40                                     // 0000000111C4: 7E504128
	v_exp_f32_e32 v41, v41                                     // 0000000111C8: 7E524129
	v_exp_f32_e32 v42, v42                                     // 0000000111CC: 7E54412A
	v_exp_f32_e32 v43, v43                                     // 0000000111D0: 7E56412B
	v_pk_fma_f32 v[44:45], v[44:45], s[46:47], v[204:205]      // 0000000111D4: D3B0402C 1F305D2C
	v_pk_fma_f32 v[46:47], v[46:47], s[46:47], v[204:205]      // 0000000111DC: D3B0402E 1F305D2E
	v_exp_f32_e32 v44, v44                                     // 0000000111E4: 7E58412C
	v_exp_f32_e32 v45, v45                                     // 0000000111E8: 7E5A412D
	v_exp_f32_e32 v46, v46                                     // 0000000111EC: 7E5C412E
	v_exp_f32_e32 v47, v47                                     // 0000000111F0: 7E5E412F
	v_pk_fma_f32 v[48:49], v[48:49], s[46:47], v[204:205]      // 0000000111F4: D3B04030 1F305D30
	v_pk_fma_f32 v[50:51], v[50:51], s[46:47], v[204:205]      // 0000000111FC: D3B04032 1F305D32
	v_exp_f32_e32 v48, v48                                     // 000000011204: 7E604130
	v_exp_f32_e32 v49, v49                                     // 000000011208: 7E624131
	v_exp_f32_e32 v50, v50                                     // 00000001120C: 7E644132
	v_exp_f32_e32 v51, v51                                     // 000000011210: 7E664133
	v_mul_f32_dpp v52, v156, v4 row_newbcast:0 row_mask:0xf bank_mask:0xf// 000000011214: 0A6808FA FF01509C
	v_mul_f32_dpp v53, v156, v5 row_newbcast:1 row_mask:0xf bank_mask:0xf// 00000001121C: 0A6A0AFA FF01519C
	v_mul_f32_dpp v54, v156, v6 row_newbcast:2 row_mask:0xf bank_mask:0xf// 000000011224: 0A6C0CFA FF01529C
	v_mul_f32_dpp v55, v156, v7 row_newbcast:3 row_mask:0xf bank_mask:0xf// 00000001122C: 0A6E0EFA FF01539C
	v_mul_f32_dpp v56, v156, v8 row_newbcast:4 row_mask:0xf bank_mask:0xf// 000000011234: 0A7010FA FF01549C
	v_mul_f32_dpp v57, v156, v9 row_newbcast:5 row_mask:0xf bank_mask:0xf// 00000001123C: 0A7212FA FF01559C
	v_mul_f32_dpp v58, v156, v10 row_newbcast:6 row_mask:0xf bank_mask:0xf// 000000011244: 0A7414FA FF01569C
	v_mul_f32_dpp v59, v156, v11 row_newbcast:7 row_mask:0xf bank_mask:0xf// 00000001124C: 0A7616FA FF01579C
	v_mul_f32_dpp v60, v156, v12 row_newbcast:8 row_mask:0xf bank_mask:0xf// 000000011254: 0A7818FA FF01589C
	v_mul_f32_dpp v61, v156, v13 row_newbcast:9 row_mask:0xf bank_mask:0xf// 00000001125C: 0A7A1AFA FF01599C
	v_mul_f32_dpp v62, v156, v14 row_newbcast:10 row_mask:0xf bank_mask:0xf// 000000011264: 0A7C1CFA FF015A9C
	v_mul_f32_dpp v63, v156, v15 row_newbcast:11 row_mask:0xf bank_mask:0xf// 00000001126C: 0A7E1EFA FF015B9C
	v_mul_f32_dpp v64, v156, v16 row_newbcast:12 row_mask:0xf bank_mask:0xf// 000000011274: 0A8020FA FF015C9C
	v_mul_f32_dpp v65, v156, v17 row_newbcast:13 row_mask:0xf bank_mask:0xf// 00000001127C: 0A8222FA FF015D9C
	v_mul_f32_dpp v66, v156, v18 row_newbcast:14 row_mask:0xf bank_mask:0xf// 000000011284: 0A8424FA FF015E9C
	v_mul_f32_dpp v67, v156, v19 row_newbcast:15 row_mask:0xf bank_mask:0xf// 00000001128C: 0A8626FA FF015F9C
	v_mul_f32_dpp v68, v156, v20 row_newbcast:0 row_mask:0xf bank_mask:0xf// 000000011294: 0A8828FA FF01509C
	v_mul_f32_dpp v69, v156, v21 row_newbcast:1 row_mask:0xf bank_mask:0xf// 00000001129C: 0A8A2AFA FF01519C
	v_mul_f32_dpp v70, v156, v22 row_newbcast:2 row_mask:0xf bank_mask:0xf// 0000000112A4: 0A8C2CFA FF01529C
	v_mul_f32_dpp v71, v156, v23 row_newbcast:3 row_mask:0xf bank_mask:0xf// 0000000112AC: 0A8E2EFA FF01539C
	v_mul_f32_dpp v72, v156, v24 row_newbcast:4 row_mask:0xf bank_mask:0xf// 0000000112B4: 0A9030FA FF01549C
	v_mul_f32_dpp v73, v156, v25 row_newbcast:5 row_mask:0xf bank_mask:0xf// 0000000112BC: 0A9232FA FF01559C
	v_mul_f32_dpp v74, v156, v26 row_newbcast:6 row_mask:0xf bank_mask:0xf// 0000000112C4: 0A9434FA FF01569C
	v_mul_f32_dpp v75, v156, v27 row_newbcast:7 row_mask:0xf bank_mask:0xf// 0000000112CC: 0A9636FA FF01579C
	v_mul_f32_dpp v76, v156, v28 row_newbcast:8 row_mask:0xf bank_mask:0xf// 0000000112D4: 0A9838FA FF01589C
	v_mul_f32_dpp v77, v156, v29 row_newbcast:9 row_mask:0xf bank_mask:0xf// 0000000112DC: 0A9A3AFA FF01599C
	v_mul_f32_dpp v78, v156, v30 row_newbcast:10 row_mask:0xf bank_mask:0xf// 0000000112E4: 0A9C3CFA FF015A9C
	v_mul_f32_dpp v79, v156, v31 row_newbcast:11 row_mask:0xf bank_mask:0xf// 0000000112EC: 0A9E3EFA FF015B9C
	v_mul_f32_dpp v80, v156, v32 row_newbcast:12 row_mask:0xf bank_mask:0xf// 0000000112F4: 0AA040FA FF015C9C
	v_mul_f32_dpp v81, v156, v33 row_newbcast:13 row_mask:0xf bank_mask:0xf// 0000000112FC: 0AA242FA FF015D9C
	v_mul_f32_dpp v82, v156, v34 row_newbcast:14 row_mask:0xf bank_mask:0xf// 000000011304: 0AA444FA FF015E9C
	v_mul_f32_dpp v83, v156, v35 row_newbcast:15 row_mask:0xf bank_mask:0xf// 00000001130C: 0AA646FA FF015F9C
	v_mul_f32_dpp v84, v156, v36 row_newbcast:0 row_mask:0xf bank_mask:0xf// 000000011314: 0AA848FA FF01509C
	v_mul_f32_dpp v85, v156, v37 row_newbcast:1 row_mask:0xf bank_mask:0xf// 00000001131C: 0AAA4AFA FF01519C
	v_mul_f32_dpp v86, v156, v38 row_newbcast:2 row_mask:0xf bank_mask:0xf// 000000011324: 0AAC4CFA FF01529C
	v_mul_f32_dpp v87, v156, v39 row_newbcast:3 row_mask:0xf bank_mask:0xf// 00000001132C: 0AAE4EFA FF01539C
	v_mul_f32_dpp v88, v156, v40 row_newbcast:4 row_mask:0xf bank_mask:0xf// 000000011334: 0AB050FA FF01549C
	v_mul_f32_dpp v89, v156, v41 row_newbcast:5 row_mask:0xf bank_mask:0xf// 00000001133C: 0AB252FA FF01559C
	v_mul_f32_dpp v90, v156, v42 row_newbcast:6 row_mask:0xf bank_mask:0xf// 000000011344: 0AB454FA FF01569C
	v_mul_f32_dpp v91, v156, v43 row_newbcast:7 row_mask:0xf bank_mask:0xf// 00000001134C: 0AB656FA FF01579C
	v_mul_f32_dpp v92, v156, v44 row_newbcast:8 row_mask:0xf bank_mask:0xf// 000000011354: 0AB858FA FF01589C
	v_mul_f32_dpp v93, v156, v45 row_newbcast:9 row_mask:0xf bank_mask:0xf// 00000001135C: 0ABA5AFA FF01599C
	v_mul_f32_dpp v94, v156, v46 row_newbcast:10 row_mask:0xf bank_mask:0xf// 000000011364: 0ABC5CFA FF015A9C
	v_mul_f32_dpp v95, v156, v47 row_newbcast:11 row_mask:0xf bank_mask:0xf// 00000001136C: 0ABE5EFA FF015B9C
	v_mul_f32_dpp v96, v156, v48 row_newbcast:12 row_mask:0xf bank_mask:0xf// 000000011374: 0AC060FA FF015C9C
	v_mul_f32_dpp v97, v156, v49 row_newbcast:13 row_mask:0xf bank_mask:0xf// 00000001137C: 0AC262FA FF015D9C
	v_mul_f32_dpp v98, v156, v50 row_newbcast:14 row_mask:0xf bank_mask:0xf// 000000011384: 0AC464FA FF015E9C
	v_mul_f32_dpp v99, v156, v51 row_newbcast:15 row_mask:0xf bank_mask:0xf// 00000001138C: 0AC666FA FF015F9C
	v_add_u32_e32 v204, s64, v221                              // 000000011394: 6999BA40
	v_add_u32_e32 v205, 0, v204                                // 000000011398: 699B9880
	v_cmp_lt_u32_e32 vcc, v205, v218                           // 00000001139C: 7D93B5CD
	v_cndmask_b32_e32 v52, 0, v52, vcc                         // 0000000113A0: 00686880
	v_cmp_lt_u32_e32 vcc, v205, v219                           // 0000000113A4: 7D93B7CD
	v_cndmask_b32_e32 v68, 0, v68, vcc                         // 0000000113A8: 00888880
	v_cmp_lt_u32_e32 vcc, v205, v220                           // 0000000113AC: 7D93B9CD
	v_cndmask_b32_e32 v84, 0, v84, vcc                         // 0000000113B0: 00A8A880
	v_add_u32_e32 v205, 1, v204                                // 0000000113B4: 699B9881
	v_cmp_lt_u32_e32 vcc, v205, v218                           // 0000000113B8: 7D93B5CD
	v_cndmask_b32_e32 v53, 0, v53, vcc                         // 0000000113BC: 006A6A80
	v_cmp_lt_u32_e32 vcc, v205, v219                           // 0000000113C0: 7D93B7CD
	v_cndmask_b32_e32 v69, 0, v69, vcc                         // 0000000113C4: 008A8A80
	v_cmp_lt_u32_e32 vcc, v205, v220                           // 0000000113C8: 7D93B9CD
	v_cndmask_b32_e32 v85, 0, v85, vcc                         // 0000000113CC: 00AAAA80
	v_add_u32_e32 v205, 2, v204                                // 0000000113D0: 699B9882
	v_cmp_lt_u32_e32 vcc, v205, v218                           // 0000000113D4: 7D93B5CD
	v_cndmask_b32_e32 v54, 0, v54, vcc                         // 0000000113D8: 006C6C80
	v_cmp_lt_u32_e32 vcc, v205, v219                           // 0000000113DC: 7D93B7CD
	v_cndmask_b32_e32 v70, 0, v70, vcc                         // 0000000113E0: 008C8C80
	v_cmp_lt_u32_e32 vcc, v205, v220                           // 0000000113E4: 7D93B9CD
	v_cndmask_b32_e32 v86, 0, v86, vcc                         // 0000000113E8: 00ACAC80
	v_add_u32_e32 v205, 3, v204                                // 0000000113EC: 699B9883
	v_cmp_lt_u32_e32 vcc, v205, v218                           // 0000000113F0: 7D93B5CD
	v_cndmask_b32_e32 v55, 0, v55, vcc                         // 0000000113F4: 006E6E80
	v_cmp_lt_u32_e32 vcc, v205, v219                           // 0000000113F8: 7D93B7CD
	v_cndmask_b32_e32 v71, 0, v71, vcc                         // 0000000113FC: 008E8E80
	v_cmp_lt_u32_e32 vcc, v205, v220                           // 000000011400: 7D93B9CD
	v_cndmask_b32_e32 v87, 0, v87, vcc                         // 000000011404: 00AEAE80
	v_add_u32_e32 v205, 64, v204                               // 000000011408: 699B98C0
	v_cmp_lt_u32_e32 vcc, v205, v218                           // 00000001140C: 7D93B5CD
	v_cndmask_b32_e32 v56, 0, v56, vcc                         // 000000011410: 00707080
	v_cmp_lt_u32_e32 vcc, v205, v219                           // 000000011414: 7D93B7CD
	v_cndmask_b32_e32 v72, 0, v72, vcc                         // 000000011418: 00909080
	v_cmp_lt_u32_e32 vcc, v205, v220                           // 00000001141C: 7D93B9CD
	v_cndmask_b32_e32 v88, 0, v88, vcc                         // 000000011420: 00B0B080
	v_add_u32_e32 v205, 0x41, v204                             // 000000011424: 699B98FF 00000041
	v_cmp_lt_u32_e32 vcc, v205, v218                           // 00000001142C: 7D93B5CD
	v_cndmask_b32_e32 v57, 0, v57, vcc                         // 000000011430: 00727280
	v_cmp_lt_u32_e32 vcc, v205, v219                           // 000000011434: 7D93B7CD
	v_cndmask_b32_e32 v73, 0, v73, vcc                         // 000000011438: 00929280
	v_cmp_lt_u32_e32 vcc, v205, v220                           // 00000001143C: 7D93B9CD
	v_cndmask_b32_e32 v89, 0, v89, vcc                         // 000000011440: 00B2B280
	v_add_u32_e32 v205, 0x42, v204                             // 000000011444: 699B98FF 00000042
	v_cmp_lt_u32_e32 vcc, v205, v218                           // 00000001144C: 7D93B5CD
	v_cndmask_b32_e32 v58, 0, v58, vcc                         // 000000011450: 00747480
	v_cmp_lt_u32_e32 vcc, v205, v219                           // 000000011454: 7D93B7CD
	v_cndmask_b32_e32 v74, 0, v74, vcc                         // 000000011458: 00949480
	v_cmp_lt_u32_e32 vcc, v205, v220                           // 00000001145C: 7D93B9CD
	v_cndmask_b32_e32 v90, 0, v90, vcc                         // 000000011460: 00B4B480
	v_add_u32_e32 v205, 0x43, v204                             // 000000011464: 699B98FF 00000043
	v_cmp_lt_u32_e32 vcc, v205, v218                           // 00000001146C: 7D93B5CD
	v_cndmask_b32_e32 v59, 0, v59, vcc                         // 000000011470: 00767680
	v_cmp_lt_u32_e32 vcc, v205, v219                           // 000000011474: 7D93B7CD
	v_cndmask_b32_e32 v75, 0, v75, vcc                         // 000000011478: 00969680
	v_cmp_lt_u32_e32 vcc, v205, v220                           // 00000001147C: 7D93B9CD
	v_cndmask_b32_e32 v91, 0, v91, vcc                         // 000000011480: 00B6B680
	v_add_u32_e32 v205, 0x80, v204                             // 000000011484: 699B98FF 00000080
	v_cmp_lt_u32_e32 vcc, v205, v218                           // 00000001148C: 7D93B5CD
	v_cndmask_b32_e32 v60, 0, v60, vcc                         // 000000011490: 00787880
	v_cmp_lt_u32_e32 vcc, v205, v219                           // 000000011494: 7D93B7CD
	v_cndmask_b32_e32 v76, 0, v76, vcc                         // 000000011498: 00989880
	v_cmp_lt_u32_e32 vcc, v205, v220                           // 00000001149C: 7D93B9CD
	v_cndmask_b32_e32 v92, 0, v92, vcc                         // 0000000114A0: 00B8B880
	v_add_u32_e32 v205, 0x81, v204                             // 0000000114A4: 699B98FF 00000081
	v_cmp_lt_u32_e32 vcc, v205, v218                           // 0000000114AC: 7D93B5CD
	v_cndmask_b32_e32 v61, 0, v61, vcc                         // 0000000114B0: 007A7A80
	v_cmp_lt_u32_e32 vcc, v205, v219                           // 0000000114B4: 7D93B7CD
	v_cndmask_b32_e32 v77, 0, v77, vcc                         // 0000000114B8: 009A9A80
	v_cmp_lt_u32_e32 vcc, v205, v220                           // 0000000114BC: 7D93B9CD
	v_cndmask_b32_e32 v93, 0, v93, vcc                         // 0000000114C0: 00BABA80
	v_add_u32_e32 v205, 0x82, v204                             // 0000000114C4: 699B98FF 00000082
	v_cmp_lt_u32_e32 vcc, v205, v218                           // 0000000114CC: 7D93B5CD
	v_cndmask_b32_e32 v62, 0, v62, vcc                         // 0000000114D0: 007C7C80
	v_cmp_lt_u32_e32 vcc, v205, v219                           // 0000000114D4: 7D93B7CD
	v_cndmask_b32_e32 v78, 0, v78, vcc                         // 0000000114D8: 009C9C80
	v_cmp_lt_u32_e32 vcc, v205, v220                           // 0000000114DC: 7D93B9CD
	v_cndmask_b32_e32 v94, 0, v94, vcc                         // 0000000114E0: 00BCBC80
	v_add_u32_e32 v205, 0x83, v204                             // 0000000114E4: 699B98FF 00000083
	v_cmp_lt_u32_e32 vcc, v205, v218                           // 0000000114EC: 7D93B5CD
	v_cndmask_b32_e32 v63, 0, v63, vcc                         // 0000000114F0: 007E7E80
	v_cmp_lt_u32_e32 vcc, v205, v219                           // 0000000114F4: 7D93B7CD
	v_cndmask_b32_e32 v79, 0, v79, vcc                         // 0000000114F8: 009E9E80
	v_cmp_lt_u32_e32 vcc, v205, v220                           // 0000000114FC: 7D93B9CD
	v_cndmask_b32_e32 v95, 0, v95, vcc                         // 000000011500: 00BEBE80
	v_add_u32_e32 v205, 0xc0, v204                             // 000000011504: 699B98FF 000000C0
	v_cmp_lt_u32_e32 vcc, v205, v218                           // 00000001150C: 7D93B5CD
	v_cndmask_b32_e32 v64, 0, v64, vcc                         // 000000011510: 00808080
	v_cmp_lt_u32_e32 vcc, v205, v219                           // 000000011514: 7D93B7CD
	v_cndmask_b32_e32 v80, 0, v80, vcc                         // 000000011518: 00A0A080
	v_cmp_lt_u32_e32 vcc, v205, v220                           // 00000001151C: 7D93B9CD
	v_cndmask_b32_e32 v96, 0, v96, vcc                         // 000000011520: 00C0C080
	v_add_u32_e32 v205, 0xc1, v204                             // 000000011524: 699B98FF 000000C1
	v_cmp_lt_u32_e32 vcc, v205, v218                           // 00000001152C: 7D93B5CD
	v_cndmask_b32_e32 v65, 0, v65, vcc                         // 000000011530: 00828280
	v_cmp_lt_u32_e32 vcc, v205, v219                           // 000000011534: 7D93B7CD
	v_cndmask_b32_e32 v81, 0, v81, vcc                         // 000000011538: 00A2A280
	v_cmp_lt_u32_e32 vcc, v205, v220                           // 00000001153C: 7D93B9CD
	v_cndmask_b32_e32 v97, 0, v97, vcc                         // 000000011540: 00C2C280
	v_add_u32_e32 v205, 0xc2, v204                             // 000000011544: 699B98FF 000000C2
	v_cmp_lt_u32_e32 vcc, v205, v218                           // 00000001154C: 7D93B5CD
	v_cndmask_b32_e32 v66, 0, v66, vcc                         // 000000011550: 00848480
	v_cmp_lt_u32_e32 vcc, v205, v219                           // 000000011554: 7D93B7CD
	v_cndmask_b32_e32 v82, 0, v82, vcc                         // 000000011558: 00A4A480
	v_cmp_lt_u32_e32 vcc, v205, v220                           // 00000001155C: 7D93B9CD
	v_cndmask_b32_e32 v98, 0, v98, vcc                         // 000000011560: 00C4C480
	v_add_u32_e32 v205, 0xc3, v204                             // 000000011564: 699B98FF 000000C3
	v_cmp_lt_u32_e32 vcc, v205, v218                           // 00000001156C: 7D93B5CD
	v_cndmask_b32_e32 v67, 0, v67, vcc                         // 000000011570: 00868680
	v_cmp_lt_u32_e32 vcc, v205, v219                           // 000000011574: 7D93B7CD
	v_cndmask_b32_e32 v83, 0, v83, vcc                         // 000000011578: 00A6A680
	v_cmp_lt_u32_e32 vcc, v205, v220                           // 00000001157C: 7D93B9CD
	v_cndmask_b32_e32 v99, 0, v99, vcc                         // 000000011580: 00C6C680
	v_mov_b32_e32 v182, 0x358637bd                             // 000000011584: 7F6C02FF 358637BD
	v_max3_f32 v182, |v52|, |v53|, v182                        // 00000001158C: D1D303B6 06DA6B34
	v_max3_f32 v182, |v54|, |v55|, v182                        // 000000011594: D1D303B6 06DA6F36
	v_max3_f32 v182, |v56|, |v57|, v182                        // 00000001159C: D1D303B6 06DA7338
	v_max3_f32 v182, |v58|, |v59|, v182                        // 0000000115A4: D1D303B6 06DA773A
	v_max3_f32 v182, |v60|, |v61|, v182                        // 0000000115AC: D1D303B6 06DA7B3C
	v_max3_f32 v182, |v62|, |v63|, v182                        // 0000000115B4: D1D303B6 06DA7F3E
	v_max3_f32 v182, |v64|, |v65|, v182                        // 0000000115BC: D1D303B6 06DA8340
	v_max3_f32 v182, |v66|, |v67|, v182                        // 0000000115C4: D1D303B6 06DA8742
	v_mov_b32_e32 v183, 0x358637bd                             // 0000000115CC: 7F6E02FF 358637BD
	v_max3_f32 v183, |v68|, |v69|, v183                        // 0000000115D4: D1D303B7 06DE8B44
	v_max3_f32 v183, |v70|, |v71|, v183                        // 0000000115DC: D1D303B7 06DE8F46
	v_max3_f32 v183, |v72|, |v73|, v183                        // 0000000115E4: D1D303B7 06DE9348
	v_max3_f32 v183, |v74|, |v75|, v183                        // 0000000115EC: D1D303B7 06DE974A
	v_max3_f32 v183, |v76|, |v77|, v183                        // 0000000115F4: D1D303B7 06DE9B4C
	v_max3_f32 v183, |v78|, |v79|, v183                        // 0000000115FC: D1D303B7 06DE9F4E
	v_max3_f32 v183, |v80|, |v81|, v183                        // 000000011604: D1D303B7 06DEA350
	v_max3_f32 v183, |v82|, |v83|, v183                        // 00000001160C: D1D303B7 06DEA752
	v_mov_b32_e32 v184, 0x358637bd                             // 000000011614: 7F7002FF 358637BD
	v_max3_f32 v184, |v84|, |v85|, v184                        // 00000001161C: D1D303B8 06E2AB54
	v_max3_f32 v184, |v86|, |v87|, v184                        // 000000011624: D1D303B8 06E2AF56
	v_max3_f32 v184, |v88|, |v89|, v184                        // 00000001162C: D1D303B8 06E2B358
	v_max3_f32 v184, |v90|, |v91|, v184                        // 000000011634: D1D303B8 06E2B75A
	v_max3_f32 v184, |v92|, |v93|, v184                        // 00000001163C: D1D303B8 06E2BB5C
	v_max3_f32 v184, |v94|, |v95|, v184                        // 000000011644: D1D303B8 06E2BF5E
	v_max3_f32 v184, |v96|, |v97|, v184                        // 00000001164C: D1D303B8 06E2C360
	v_max3_f32 v184, |v98|, |v99|, v184                        // 000000011654: D1D303B8 06E2C762
	ds_bpermute_b32 v188, v208, v182                           // 00000001165C: D87E0000 BC00B6D0
	ds_bpermute_b32 v189, v209, v182                           // 000000011664: D87E0000 BD00B6D1
	ds_bpermute_b32 v190, v210, v182                           // 00000001166C: D87E0000 BE00B6D2
	ds_bpermute_b32 v191, v208, v183                           // 000000011674: D87E0000 BF00B7D0
	ds_bpermute_b32 v192, v209, v183                           // 00000001167C: D87E0000 C000B7D1
	ds_bpermute_b32 v193, v210, v183                           // 000000011684: D87E0000 C100B7D2
	ds_bpermute_b32 v194, v208, v184                           // 00000001168C: D87E0000 C200B8D0
	ds_bpermute_b32 v195, v209, v184                           // 000000011694: D87E0000 C300B8D1
	ds_bpermute_b32 v196, v210, v184                           // 00000001169C: D87E0000 C400B8D2
	s_waitcnt lgkmcnt(6)                                       // 0000000116A4: BF8CC67F
	v_max3_f32 v182, v188, v189, v182                          // 0000000116A8: D1D300B6 06DB7BBC
	v_max_f32_e32 v182, v190, v182                             // 0000000116B0: 176D6DBE
	s_waitcnt lgkmcnt(3)                                       // 0000000116B4: BF8CC37F
	v_max3_f32 v183, v191, v192, v183                          // 0000000116B8: D1D300B7 06DF81BF
	v_max_f32_e32 v183, v193, v183                             // 0000000116C0: 176F6FC1
	s_waitcnt lgkmcnt(0)                                       // 0000000116C4: BF8CC07F
	v_max3_f32 v184, v194, v195, v184                          // 0000000116C8: D1D300B8 06E387C2
	v_max_f32_e32 v184, v196, v184                             // 0000000116D0: 177171C4
	ds_write_b128 v249, v[182:185] offset:4096                 // 0000000116D4: D9BE1000 0000B6F9
	buffer_load_dword v155, v235, s[20:23], 0 offen            // 0000000116DC: E0501000 80059BEB
	v_sub_f32_e32 v170, v164, v167                             // 0000000116E4: 05554FA4
	v_cmp_eq_u32_e64 s[98:99], v222, v164                      // 0000000116E8: D0CA0062 000349DE
	v_cndmask_b32_e64 v170, v170, 0, s[98:99]                  // 0000000116F0: D10000AA 018901AA
	v_mov_b32_e32 v164, v167                                   // 0000000116F8: 7F4803A7
	v_mul_f32_e32 v170, s46, v170                              // 0000000116FC: 0B55542E
	v_exp_f32_e32 v170, v170                                   // 000000011700: 7F5441AA
	v_sub_f32_e32 v172, v165, v168                             // 000000011704: 055951A5
	v_cmp_eq_u32_e64 s[98:99], v222, v165                      // 000000011708: D0CA0062 00034BDE
	v_cndmask_b32_e64 v172, v172, 0, s[98:99]                  // 000000011710: D10000AC 018901AC
	v_mov_b32_e32 v165, v168                                   // 000000011718: 7F4A03A8
	v_mul_f32_e32 v172, s46, v172                              // 00000001171C: 0B59582E
	v_exp_f32_e32 v172, v172                                   // 000000011720: 7F5841AC
	v_sub_f32_e32 v174, v166, v169                             // 000000011724: 055D53A6
	v_cmp_eq_u32_e64 s[98:99], v222, v166                      // 000000011728: D0CA0062 00034DDE
	v_cndmask_b32_e64 v174, v174, 0, s[98:99]                  // 000000011730: D10000AE 018901AE
	v_mov_b32_e32 v166, v169                                   // 000000011738: 7F4C03A9
	v_mul_f32_e32 v174, s46, v174                              // 00000001173C: 0B5D5C2E
	v_exp_f32_e32 v174, v174                                   // 000000011740: 7F5C41AE
	v_mov_b32_e32 v171, v170                                   // 000000011744: 7F5603AA
	v_mov_b32_e32 v173, v172                                   // 000000011748: 7F5A03AC
	v_mov_b32_e32 v175, v174                                   // 00000001174C: 7F5E03AE
	s_waitcnt lgkmcnt(0)                                       // 000000011750: BF8CC07F
	s_barrier                                                  // 000000011754: BF8A0000
	ds_read_b128 v[188:191], v250 offset:4096                  // 000000011758: D9FE1000 BC0000FA
	ds_read_b128 v[192:195], v250 offset:4352                  // 000000011760: D9FE1100 C00000FA
	ds_read_b128 v[196:199], v250 offset:4608                  // 000000011768: D9FE1200 C40000FA
	ds_read_b128 v[200:203], v250 offset:4864                  // 000000011770: D9FE1300 C80000FA
	buffer_load_dword v157, v236, s[24:27], 0 offen            // 000000011778: E0501000 80069DEC
	v_mul_f32_e32 v176, v170, v176                             // 000000011780: 0B6161AA
	v_mov_b32_e32 v177, 0                                      // 000000011784: 7F620280
	v_pk_add_f32 v[176:177], v[4:5], v[176:177]                // 000000011788: D3B240B0 18036104
	v_pk_add_f32 v[176:177], v[6:7], v[176:177]                // 000000011790: D3B240B0 18036106
	v_pk_add_f32 v[176:177], v[8:9], v[176:177]                // 000000011798: D3B240B0 18036108
	v_pk_add_f32 v[176:177], v[10:11], v[176:177]              // 0000000117A0: D3B240B0 1803610A
	v_pk_add_f32 v[176:177], v[12:13], v[176:177]              // 0000000117A8: D3B240B0 1803610C
	v_pk_add_f32 v[176:177], v[14:15], v[176:177]              // 0000000117B0: D3B240B0 1803610E
	v_pk_add_f32 v[176:177], v[16:17], v[176:177]              // 0000000117B8: D3B240B0 18036110
	v_pk_add_f32 v[176:177], v[18:19], v[176:177]              // 0000000117C0: D3B240B0 18036112
	v_add_f32_e32 v176, v177, v176                             // 0000000117C8: 036161B1
	v_mul_f32_e32 v178, v172, v178                             // 0000000117CC: 0B6565AC
	v_mov_b32_e32 v179, 0                                      // 0000000117D0: 7F660280
	v_pk_add_f32 v[178:179], v[20:21], v[178:179]              // 0000000117D4: D3B240B2 18036514
	v_pk_add_f32 v[178:179], v[22:23], v[178:179]              // 0000000117DC: D3B240B2 18036516
	v_pk_add_f32 v[178:179], v[24:25], v[178:179]              // 0000000117E4: D3B240B2 18036518
	v_pk_add_f32 v[178:179], v[26:27], v[178:179]              // 0000000117EC: D3B240B2 1803651A
	v_pk_add_f32 v[178:179], v[28:29], v[178:179]              // 0000000117F4: D3B240B2 1803651C
	v_pk_add_f32 v[178:179], v[30:31], v[178:179]              // 0000000117FC: D3B240B2 1803651E
	v_pk_add_f32 v[178:179], v[32:33], v[178:179]              // 000000011804: D3B240B2 18036520
	v_pk_add_f32 v[178:179], v[34:35], v[178:179]              // 00000001180C: D3B240B2 18036522
	v_add_f32_e32 v178, v179, v178                             // 000000011814: 036565B3
	v_mul_f32_e32 v180, v174, v180                             // 000000011818: 0B6969AE
	v_mov_b32_e32 v181, 0                                      // 00000001181C: 7F6A0280
	v_pk_add_f32 v[180:181], v[36:37], v[180:181]              // 000000011820: D3B240B4 18036924
	v_pk_add_f32 v[180:181], v[38:39], v[180:181]              // 000000011828: D3B240B4 18036926
	;; [unrolled: 1-line block ×3, first 2 shown]
	v_pk_add_f32 v[180:181], v[42:43], v[180:181]              // 000000011838: D3B240B4 1803692A
	v_pk_add_f32 v[180:181], v[44:45], v[180:181]              // 000000011840: D3B240B4 1803692C
	v_pk_add_f32 v[180:181], v[46:47], v[180:181]              // 000000011848: D3B240B4 1803692E
	v_pk_add_f32 v[180:181], v[48:49], v[180:181]              // 000000011850: D3B240B4 18036930
	v_pk_add_f32 v[180:181], v[50:51], v[180:181]              // 000000011858: D3B240B4 18036932
	v_add_f32_e32 v180, v181, v180                             // 000000011860: 036969B5
	s_waitcnt lgkmcnt(0)                                       // 000000011864: BF8CC07F
	v_max3_f32 v182, v188, v192, v182                          // 000000011868: D1D300B6 06DB81BC
	v_max3_f32 v183, v189, v193, v183                          // 000000011870: D1D300B7 06DF83BD
	v_max3_f32 v184, v190, v194, v184                          // 000000011878: D1D300B8 06E385BE
	v_max3_f32 v182, v196, v200, v182                          // 000000011880: D1D300B6 06DB91C4
	v_max3_f32 v183, v197, v201, v183                          // 000000011888: D1D300B7 06DF93C5
	v_max3_f32 v184, v198, v202, v184                          // 000000011890: D1D300B8 06E395C6
	v_rcp_f32_e32 v182, v182                                   // 000000011898: 7F6C45B6
	v_rcp_f32_e32 v183, v183                                   // 00000001189C: 7F6E45B7
	v_rcp_f32_e32 v184, v184                                   // 0000000118A0: 7F7045B8
	v_mul_f32_e32 v182, 0x43700000, v182                       // 0000000118A4: 0B6D6CFF 43700000
	v_mul_f32_e32 v183, 0x43700000, v183                       // 0000000118AC: 0B6F6EFF 43700000
	v_mul_f32_e32 v184, 0x43700000, v184                       // 0000000118B4: 0B7170FF 43700000
	v_mov_b32_e32 v186, v184                                   // 0000000118BC: 7F7403B8
	v_mov_b32_e32 v187, v184                                   // 0000000118C0: 7F7603B8
	v_mov_b32_e32 v184, v183                                   // 0000000118C4: 7F7003B7
	v_mov_b32_e32 v185, v183                                   // 0000000118C8: 7F7203B7
	v_mov_b32_e32 v183, v182                                   // 0000000118CC: 7F6E03B6
	v_pk_mul_f32 v[4:5], v[182:183], v[52:53]                  // 0000000118D0: D3B14004 180269B6
	v_pk_mul_f32 v[6:7], v[182:183], v[54:55]                  // 0000000118D8: D3B14006 18026DB6
	v_pk_mul_f32 v[8:9], v[182:183], v[56:57]                  // 0000000118E0: D3B14008 180271B6
	v_pk_mul_f32 v[10:11], v[182:183], v[58:59]                // 0000000118E8: D3B1400A 180275B6
	v_pk_mul_f32 v[12:13], v[182:183], v[60:61]                // 0000000118F0: D3B1400C 180279B6
	v_pk_mul_f32 v[14:15], v[182:183], v[62:63]                // 0000000118F8: D3B1400E 18027DB6
	v_pk_mul_f32 v[16:17], v[182:183], v[64:65]                // 000000011900: D3B14010 180281B6
	v_pk_mul_f32 v[18:19], v[182:183], v[66:67]                // 000000011908: D3B14012 180285B6
	v_pk_mul_f32 v[20:21], v[184:185], v[68:69]                // 000000011910: D3B14014 180289B8
	v_pk_mul_f32 v[22:23], v[184:185], v[70:71]                // 000000011918: D3B14016 18028DB8
	v_pk_mul_f32 v[24:25], v[184:185], v[72:73]                // 000000011920: D3B14018 180291B8
	v_pk_mul_f32 v[26:27], v[184:185], v[74:75]                // 000000011928: D3B1401A 180295B8
	v_pk_mul_f32 v[28:29], v[184:185], v[76:77]                // 000000011930: D3B1401C 180299B8
	v_pk_mul_f32 v[30:31], v[184:185], v[78:79]                // 000000011938: D3B1401E 18029DB8
	v_pk_mul_f32 v[32:33], v[184:185], v[80:81]                // 000000011940: D3B14020 1802A1B8
	v_pk_mul_f32 v[34:35], v[184:185], v[82:83]                // 000000011948: D3B14022 1802A5B8
	v_pk_mul_f32 v[36:37], v[186:187], v[84:85]                // 000000011950: D3B14024 1802A9BA
	v_pk_mul_f32 v[38:39], v[186:187], v[86:87]                // 000000011958: D3B14026 1802ADBA
	v_pk_mul_f32 v[40:41], v[186:187], v[88:89]                // 000000011960: D3B14028 1802B1BA
	v_pk_mul_f32 v[42:43], v[186:187], v[90:91]                // 000000011968: D3B1402A 1802B5BA
	v_pk_mul_f32 v[44:45], v[186:187], v[92:93]                // 000000011970: D3B1402C 1802B9BA
	v_pk_mul_f32 v[46:47], v[186:187], v[94:95]                // 000000011978: D3B1402E 1802BDBA
	v_pk_mul_f32 v[48:49], v[186:187], v[96:97]                // 000000011980: D3B14030 1802C1BA
	v_pk_mul_f32 v[50:51], v[186:187], v[98:99]                // 000000011988: D3B14032 1802C5BA
	v_cvt_pk_fp8_f32 v4, v4, v5                                // 000000011990: D2A20004 00020B04
	v_cvt_pk_fp8_f32 v4, v6, v7 op_sel:[0,0,1]                 // 000000011998: D2A24004 00020F06
	v_cvt_pk_fp8_f32 v5, v8, v9                                // 0000000119A0: D2A20005 00021308
	v_cvt_pk_fp8_f32 v5, v10, v11 op_sel:[0,0,1]               // 0000000119A8: D2A24005 0002170A
	v_cvt_pk_fp8_f32 v6, v12, v13                              // 0000000119B0: D2A20006 00021B0C
	v_cvt_pk_fp8_f32 v6, v14, v15 op_sel:[0,0,1]               // 0000000119B8: D2A24006 00021F0E
	v_cvt_pk_fp8_f32 v7, v16, v17                              // 0000000119C0: D2A20007 00022310
	v_cvt_pk_fp8_f32 v7, v18, v19 op_sel:[0,0,1]               // 0000000119C8: D2A24007 00022712
	v_cvt_pk_fp8_f32 v8, v20, v21                              // 0000000119D0: D2A20008 00022B14
	v_cvt_pk_fp8_f32 v8, v22, v23 op_sel:[0,0,1]               // 0000000119D8: D2A24008 00022F16
	v_cvt_pk_fp8_f32 v9, v24, v25                              // 0000000119E0: D2A20009 00023318
	v_cvt_pk_fp8_f32 v9, v26, v27 op_sel:[0,0,1]               // 0000000119E8: D2A24009 0002371A
	v_cvt_pk_fp8_f32 v10, v28, v29                             // 0000000119F0: D2A2000A 00023B1C
	v_cvt_pk_fp8_f32 v10, v30, v31 op_sel:[0,0,1]              // 0000000119F8: D2A2400A 00023F1E
	v_cvt_pk_fp8_f32 v11, v32, v33                             // 000000011A00: D2A2000B 00024320
	v_cvt_pk_fp8_f32 v11, v34, v35 op_sel:[0,0,1]              // 000000011A08: D2A2400B 00024722
	v_cvt_pk_fp8_f32 v12, v36, v37                             // 000000011A10: D2A2000C 00024B24
	v_cvt_pk_fp8_f32 v12, v38, v39 op_sel:[0,0,1]              // 000000011A18: D2A2400C 00024F26
	v_cvt_pk_fp8_f32 v13, v40, v41                             // 000000011A20: D2A2000D 00025328
	v_cvt_pk_fp8_f32 v13, v42, v43 op_sel:[0,0,1]              // 000000011A28: D2A2400D 0002572A
	v_cvt_pk_fp8_f32 v14, v44, v45                             // 000000011A30: D2A2000E 00025B2C
	v_cvt_pk_fp8_f32 v14, v46, v47 op_sel:[0,0,1]              // 000000011A38: D2A2400E 00025F2E
	v_cvt_pk_fp8_f32 v15, v48, v49                             // 000000011A40: D2A2000F 00026330
	v_cvt_pk_fp8_f32 v15, v50, v51 op_sel:[0,0,1]              // 000000011A48: D2A2400F 00026732
	ds_write_b32 v251, v4 offset:8192                          // 000000011A50: D81A2000 000004FB
	ds_write_b32 v251, v5 offset:9216                          // 000000011A58: D81A2400 000005FB
	ds_write_b32 v251, v6 offset:10240                         // 000000011A60: D81A2800 000006FB
	ds_write_b32 v251, v7 offset:11264                         // 000000011A68: D81A2C00 000007FB
	ds_write_b32 v251, v8 offset:12288                         // 000000011A70: D81A3000 000008FB
	ds_write_b32 v251, v9 offset:13312                         // 000000011A78: D81A3400 000009FB
	ds_write_b32 v251, v10 offset:14336                        // 000000011A80: D81A3800 00000AFB
	ds_write_b32 v251, v11 offset:15360                        // 000000011A88: D81A3C00 00000BFB
	ds_write_b32 v251, v12 offset:16384                        // 000000011A90: D81A4000 00000CFB
	ds_write_b32 v251, v13 offset:17408                        // 000000011A98: D81A4400 00000DFB
	ds_write_b32 v251, v14 offset:18432                        // 000000011AA0: D81A4800 00000EFB
	ds_write_b32 v251, v15 offset:19456                        // 000000011AA8: D81A4C00 00000FFB
	v_rcp_f32_e32 v158, v182                                   // 000000011AB0: 7F3C45B6
	v_rcp_f32_e32 v160, v184                                   // 000000011AB4: 7F4045B8
	v_rcp_f32_e32 v162, v186                                   // 000000011AB8: 7F4445BA
	v_mov_b32_e32 v159, v158                                   // 000000011ABC: 7F3E039E
	v_mov_b32_e32 v161, v160                                   // 000000011AC0: 7F4203A0
	v_mov_b32_e32 v163, v162                                   // 000000011AC4: 7F4603A2
	v_pk_add_f32 v[124:125], v[124:125], v[100:101]            // 000000011AC8: D3B2407C 1802C97C
	v_pk_add_f32 v[126:127], v[126:127], v[102:103]            // 000000011AD0: D3B2407E 1802CD7E
	v_pk_add_f32 v[128:129], v[128:129], v[104:105]            // 000000011AD8: D3B24080 1802D180
	v_pk_add_f32 v[130:131], v[130:131], v[106:107]            // 000000011AE0: D3B24082 1802D582
	v_pk_add_f32 v[132:133], v[132:133], v[108:109]            // 000000011AE8: D3B24084 1802D984
	v_pk_add_f32 v[134:135], v[134:135], v[110:111]            // 000000011AF0: D3B24086 1802DD86
	v_pk_add_f32 v[136:137], v[136:137], v[112:113]            // 000000011AF8: D3B24088 1802E188
	v_pk_add_f32 v[138:139], v[138:139], v[114:115]            // 000000011B00: D3B2408A 1802E58A
	v_pk_add_f32 v[140:141], v[140:141], v[116:117]            // 000000011B08: D3B2408C 1802E98C
	v_pk_add_f32 v[142:143], v[142:143], v[118:119]            // 000000011B10: D3B2408E 1802ED8E
	v_pk_add_f32 v[144:145], v[144:145], v[120:121]            // 000000011B18: D3B24090 1802F190
	v_pk_add_f32 v[146:147], v[146:147], v[122:123]            // 000000011B20: D3B24092 1802F592
	s_waitcnt lgkmcnt(0)                                       // 000000011B28: BF8CC07F
	s_barrier                                                  // 000000011B2C: BF8A0000
	ds_read_b128 v[4:7], v252 offset:8192                      // 000000011B30: D9FE2000 040000FC
	ds_read_b128 v[8:11], v252 offset:9216                     // 000000011B38: D9FE2400 080000FC
	ds_read_b128 v[12:15], v252 offset:10240                   // 000000011B40: D9FE2800 0C0000FC
	ds_read_b128 v[16:19], v252 offset:11264                   // 000000011B48: D9FE2C00 100000FC
	ds_read_b128 v[20:23], v252 offset:12288                   // 000000011B50: D9FE3000 140000FC
	ds_read_b128 v[24:27], v252 offset:13312                   // 000000011B58: D9FE3400 180000FC
	ds_read_b128 v[28:31], v252 offset:14336                   // 000000011B60: D9FE3800 1C0000FC
	ds_read_b128 v[32:35], v252 offset:15360                   // 000000011B68: D9FE3C00 200000FC
	ds_read_b128 v[36:39], v252 offset:16384                   // 000000011B70: D9FE4000 240000FC
	ds_read_b128 v[40:43], v252 offset:17408                   // 000000011B78: D9FE4400 280000FC
	ds_read_b128 v[44:47], v252 offset:18432                   // 000000011B80: D9FE4800 2C0000FC
	ds_read_b128 v[48:51], v252 offset:19456                   // 000000011B88: D9FE4C00 300000FC
	s_waitcnt vmcnt(10)                                        // 000000011B90: BF8C0F7A
	v_lshrrev_b32_e32 v211, 4, v0                              // 000000011B94: 21A60084
	v_lshlrev_b32_e32 v211, 4, v211                            // 000000011B98: 25A7A684
	v_add_u32_e32 v204, s64, v211                              // 000000011B9C: 6999A640
	v_add_u32_e32 v204, 4, v204                                // 000000011BA0: 69999884
	v_sub_i32 v204, v204, s62                                  // 000000011BA4: D29D00CC 00007DCC
	s_mov_b32 s54, 0                                           // 000000011BAC: BEB60080
	v_add_i32 v205, s54, v204                                  // 000000011BB0: D29C00CD 00039836
	v_cmp_lt_i32_e64 vcc, v205, 4                              // 000000011BB8: D0C1006A 000109CD
	v_min_u32_e32 v205, 4, v205                                // 000000011BC0: 1D9B9A84
	v_lshlrev_b32_e32 v205, 3, v205                            // 000000011BC4: 259B9A83
	v_lshrrev_b32_e64 v206, v205, -1                           // 000000011BC8: D11000CE 000183CD
	v_accvgpr_read_b32 v207, a88                               // 000000011BD0: D3D840CF 18000158
	v_cndmask_b32_e32 v207, 0, v207, vcc                       // 000000011BD8: 019F9E80
	v_and_b32_e32 v207, v207, v206                             // 000000011BDC: 279F9DCF
	v_accvgpr_write_b32 a88, v207                              // 000000011BE0: D3D94058 180001CF
	v_accvgpr_read_b32 v207, a104                              // 000000011BE8: D3D840CF 18000168
	v_cndmask_b32_e32 v207, 0, v207, vcc                       // 000000011BF0: 019F9E80
	v_and_b32_e32 v207, v207, v206                             // 000000011BF4: 279F9DCF
	v_accvgpr_write_b32 a104, v207                             // 000000011BF8: D3D94068 180001CF
	s_mov_b32 s54, 4                                           // 000000011C00: BEB60084
	v_add_i32 v205, s54, v204                                  // 000000011C04: D29C00CD 00039836
	v_cmp_lt_i32_e64 vcc, v205, 4                              // 000000011C0C: D0C1006A 000109CD
	v_min_u32_e32 v205, 4, v205                                // 000000011C14: 1D9B9A84
	v_lshlrev_b32_e32 v205, 3, v205                            // 000000011C18: 259B9A83
	v_lshrrev_b32_e64 v206, v205, -1                           // 000000011C1C: D11000CE 000183CD
	v_accvgpr_read_b32 v207, a89                               // 000000011C24: D3D840CF 18000159
	v_cndmask_b32_e32 v207, 0, v207, vcc                       // 000000011C2C: 019F9E80
	v_and_b32_e32 v207, v207, v206                             // 000000011C30: 279F9DCF
	v_accvgpr_write_b32 a89, v207                              // 000000011C34: D3D94059 180001CF
	v_accvgpr_read_b32 v207, a105                              // 000000011C3C: D3D840CF 18000169
	v_cndmask_b32_e32 v207, 0, v207, vcc                       // 000000011C44: 019F9E80
	v_and_b32_e32 v207, v207, v206                             // 000000011C48: 279F9DCF
	v_accvgpr_write_b32 a105, v207                             // 000000011C4C: D3D94069 180001CF
	s_mov_b32 s54, 8                                           // 000000011C54: BEB60088
	v_add_i32 v205, s54, v204                                  // 000000011C58: D29C00CD 00039836
	v_cmp_lt_i32_e64 vcc, v205, 4                              // 000000011C60: D0C1006A 000109CD
	v_min_u32_e32 v205, 4, v205                                // 000000011C68: 1D9B9A84
	v_lshlrev_b32_e32 v205, 3, v205                            // 000000011C6C: 259B9A83
	v_lshrrev_b32_e64 v206, v205, -1                           // 000000011C70: D11000CE 000183CD
	v_accvgpr_read_b32 v207, a90                               // 000000011C78: D3D840CF 1800015A
	v_cndmask_b32_e32 v207, 0, v207, vcc                       // 000000011C80: 019F9E80
	v_and_b32_e32 v207, v207, v206                             // 000000011C84: 279F9DCF
	v_accvgpr_write_b32 a90, v207                              // 000000011C88: D3D9405A 180001CF
	v_accvgpr_read_b32 v207, a106                              // 000000011C90: D3D840CF 1800016A
	v_cndmask_b32_e32 v207, 0, v207, vcc                       // 000000011C98: 019F9E80
	v_and_b32_e32 v207, v207, v206                             // 000000011C9C: 279F9DCF
	v_accvgpr_write_b32 a106, v207                             // 000000011CA0: D3D9406A 180001CF
	s_mov_b32 s54, 12                                          // 000000011CA8: BEB6008C
	v_add_i32 v205, s54, v204                                  // 000000011CAC: D29C00CD 00039836
	v_cmp_lt_i32_e64 vcc, v205, 4                              // 000000011CB4: D0C1006A 000109CD
	v_min_u32_e32 v205, 4, v205                                // 000000011CBC: 1D9B9A84
	v_lshlrev_b32_e32 v205, 3, v205                            // 000000011CC0: 259B9A83
	v_lshrrev_b32_e64 v206, v205, -1                           // 000000011CC4: D11000CE 000183CD
	v_accvgpr_read_b32 v207, a91                               // 000000011CCC: D3D840CF 1800015B
	v_cndmask_b32_e32 v207, 0, v207, vcc                       // 000000011CD4: 019F9E80
	v_and_b32_e32 v207, v207, v206                             // 000000011CD8: 279F9DCF
	v_accvgpr_write_b32 a91, v207                              // 000000011CDC: D3D9405B 180001CF
	v_accvgpr_read_b32 v207, a107                              // 000000011CE4: D3D840CF 1800016B
	v_cndmask_b32_e32 v207, 0, v207, vcc                       // 000000011CEC: 019F9E80
	v_and_b32_e32 v207, v207, v206                             // 000000011CF0: 279F9DCF
	v_accvgpr_write_b32 a107, v207                             // 000000011CF4: D3D9406B 180001CF
	s_mov_b32 s54, 64                                          // 000000011CFC: BEB600C0
	v_add_i32 v205, s54, v204                                  // 000000011D00: D29C00CD 00039836
	v_cmp_lt_i32_e64 vcc, v205, 4                              // 000000011D08: D0C1006A 000109CD
	v_min_u32_e32 v205, 4, v205                                // 000000011D10: 1D9B9A84
	v_lshlrev_b32_e32 v205, 3, v205                            // 000000011D14: 259B9A83
	v_lshrrev_b32_e64 v206, v205, -1                           // 000000011D18: D11000CE 000183CD
	v_accvgpr_read_b32 v207, a92                               // 000000011D20: D3D840CF 1800015C
	v_cndmask_b32_e32 v207, 0, v207, vcc                       // 000000011D28: 019F9E80
	v_and_b32_e32 v207, v207, v206                             // 000000011D2C: 279F9DCF
	v_accvgpr_write_b32 a92, v207                              // 000000011D30: D3D9405C 180001CF
	v_accvgpr_read_b32 v207, a108                              // 000000011D38: D3D840CF 1800016C
	v_cndmask_b32_e32 v207, 0, v207, vcc                       // 000000011D40: 019F9E80
	v_and_b32_e32 v207, v207, v206                             // 000000011D44: 279F9DCF
	v_accvgpr_write_b32 a108, v207                             // 000000011D48: D3D9406C 180001CF
	s_mov_b32 s54, 0x44                                        // 000000011D50: BEB600FF 00000044
	v_add_i32 v205, s54, v204                                  // 000000011D58: D29C00CD 00039836
	v_cmp_lt_i32_e64 vcc, v205, 4                              // 000000011D60: D0C1006A 000109CD
	v_min_u32_e32 v205, 4, v205                                // 000000011D68: 1D9B9A84
	v_lshlrev_b32_e32 v205, 3, v205                            // 000000011D6C: 259B9A83
	v_lshrrev_b32_e64 v206, v205, -1                           // 000000011D70: D11000CE 000183CD
	v_accvgpr_read_b32 v207, a93                               // 000000011D78: D3D840CF 1800015D
	v_cndmask_b32_e32 v207, 0, v207, vcc                       // 000000011D80: 019F9E80
	v_and_b32_e32 v207, v207, v206                             // 000000011D84: 279F9DCF
	v_accvgpr_write_b32 a93, v207                              // 000000011D88: D3D9405D 180001CF
	v_accvgpr_read_b32 v207, a109                              // 000000011D90: D3D840CF 1800016D
	v_cndmask_b32_e32 v207, 0, v207, vcc                       // 000000011D98: 019F9E80
	v_and_b32_e32 v207, v207, v206                             // 000000011D9C: 279F9DCF
	v_accvgpr_write_b32 a109, v207                             // 000000011DA0: D3D9406D 180001CF
	s_mov_b32 s54, 0x48                                        // 000000011DA8: BEB600FF 00000048
	v_add_i32 v205, s54, v204                                  // 000000011DB0: D29C00CD 00039836
	v_cmp_lt_i32_e64 vcc, v205, 4                              // 000000011DB8: D0C1006A 000109CD
	v_min_u32_e32 v205, 4, v205                                // 000000011DC0: 1D9B9A84
	v_lshlrev_b32_e32 v205, 3, v205                            // 000000011DC4: 259B9A83
	v_lshrrev_b32_e64 v206, v205, -1                           // 000000011DC8: D11000CE 000183CD
	v_accvgpr_read_b32 v207, a94                               // 000000011DD0: D3D840CF 1800015E
	v_cndmask_b32_e32 v207, 0, v207, vcc                       // 000000011DD8: 019F9E80
	v_and_b32_e32 v207, v207, v206                             // 000000011DDC: 279F9DCF
	v_accvgpr_write_b32 a94, v207                              // 000000011DE0: D3D9405E 180001CF
	v_accvgpr_read_b32 v207, a110                              // 000000011DE8: D3D840CF 1800016E
	v_cndmask_b32_e32 v207, 0, v207, vcc                       // 000000011DF0: 019F9E80
	v_and_b32_e32 v207, v207, v206                             // 000000011DF4: 279F9DCF
	v_accvgpr_write_b32 a110, v207                             // 000000011DF8: D3D9406E 180001CF
	s_mov_b32 s54, 0x4c                                        // 000000011E00: BEB600FF 0000004C
	v_add_i32 v205, s54, v204                                  // 000000011E08: D29C00CD 00039836
	v_cmp_lt_i32_e64 vcc, v205, 4                              // 000000011E10: D0C1006A 000109CD
	v_min_u32_e32 v205, 4, v205                                // 000000011E18: 1D9B9A84
	v_lshlrev_b32_e32 v205, 3, v205                            // 000000011E1C: 259B9A83
	v_lshrrev_b32_e64 v206, v205, -1                           // 000000011E20: D11000CE 000183CD
	v_accvgpr_read_b32 v207, a95                               // 000000011E28: D3D840CF 1800015F
	v_cndmask_b32_e32 v207, 0, v207, vcc                       // 000000011E30: 019F9E80
	v_and_b32_e32 v207, v207, v206                             // 000000011E34: 279F9DCF
	v_accvgpr_write_b32 a95, v207                              // 000000011E38: D3D9405F 180001CF
	v_accvgpr_read_b32 v207, a111                              // 000000011E40: D3D840CF 1800016F
	v_cndmask_b32_e32 v207, 0, v207, vcc                       // 000000011E48: 019F9E80
	v_and_b32_e32 v207, v207, v206                             // 000000011E4C: 279F9DCF
	v_accvgpr_write_b32 a111, v207                             // 000000011E50: D3D9406F 180001CF
	s_mov_b32 s54, 0x80                                        // 000000011E58: BEB600FF 00000080
	v_add_i32 v205, s54, v204                                  // 000000011E60: D29C00CD 00039836
	v_cmp_lt_i32_e64 vcc, v205, 4                              // 000000011E68: D0C1006A 000109CD
	v_min_u32_e32 v205, 4, v205                                // 000000011E70: 1D9B9A84
	v_lshlrev_b32_e32 v205, 3, v205                            // 000000011E74: 259B9A83
	v_lshrrev_b32_e64 v206, v205, -1                           // 000000011E78: D11000CE 000183CD
	v_accvgpr_read_b32 v207, a96                               // 000000011E80: D3D840CF 18000160
	v_cndmask_b32_e32 v207, 0, v207, vcc                       // 000000011E88: 019F9E80
	v_and_b32_e32 v207, v207, v206                             // 000000011E8C: 279F9DCF
	v_accvgpr_write_b32 a96, v207                              // 000000011E90: D3D94060 180001CF
	v_accvgpr_read_b32 v207, a112                              // 000000011E98: D3D840CF 18000170
	v_cndmask_b32_e32 v207, 0, v207, vcc                       // 000000011EA0: 019F9E80
	v_and_b32_e32 v207, v207, v206                             // 000000011EA4: 279F9DCF
	v_accvgpr_write_b32 a112, v207                             // 000000011EA8: D3D94070 180001CF
	s_mov_b32 s54, 0x84                                        // 000000011EB0: BEB600FF 00000084
	v_add_i32 v205, s54, v204                                  // 000000011EB8: D29C00CD 00039836
	v_cmp_lt_i32_e64 vcc, v205, 4                              // 000000011EC0: D0C1006A 000109CD
	v_min_u32_e32 v205, 4, v205                                // 000000011EC8: 1D9B9A84
	v_lshlrev_b32_e32 v205, 3, v205                            // 000000011ECC: 259B9A83
	v_lshrrev_b32_e64 v206, v205, -1                           // 000000011ED0: D11000CE 000183CD
	v_accvgpr_read_b32 v207, a97                               // 000000011ED8: D3D840CF 18000161
	v_cndmask_b32_e32 v207, 0, v207, vcc                       // 000000011EE0: 019F9E80
	v_and_b32_e32 v207, v207, v206                             // 000000011EE4: 279F9DCF
	v_accvgpr_write_b32 a97, v207                              // 000000011EE8: D3D94061 180001CF
	v_accvgpr_read_b32 v207, a113                              // 000000011EF0: D3D840CF 18000171
	v_cndmask_b32_e32 v207, 0, v207, vcc                       // 000000011EF8: 019F9E80
	v_and_b32_e32 v207, v207, v206                             // 000000011EFC: 279F9DCF
	v_accvgpr_write_b32 a113, v207                             // 000000011F00: D3D94071 180001CF
	s_mov_b32 s54, 0x88                                        // 000000011F08: BEB600FF 00000088
	v_add_i32 v205, s54, v204                                  // 000000011F10: D29C00CD 00039836
	v_cmp_lt_i32_e64 vcc, v205, 4                              // 000000011F18: D0C1006A 000109CD
	v_min_u32_e32 v205, 4, v205                                // 000000011F20: 1D9B9A84
	v_lshlrev_b32_e32 v205, 3, v205                            // 000000011F24: 259B9A83
	v_lshrrev_b32_e64 v206, v205, -1                           // 000000011F28: D11000CE 000183CD
	v_accvgpr_read_b32 v207, a98                               // 000000011F30: D3D840CF 18000162
	v_cndmask_b32_e32 v207, 0, v207, vcc                       // 000000011F38: 019F9E80
	v_and_b32_e32 v207, v207, v206                             // 000000011F3C: 279F9DCF
	v_accvgpr_write_b32 a98, v207                              // 000000011F40: D3D94062 180001CF
	v_accvgpr_read_b32 v207, a114                              // 000000011F48: D3D840CF 18000172
	v_cndmask_b32_e32 v207, 0, v207, vcc                       // 000000011F50: 019F9E80
	v_and_b32_e32 v207, v207, v206                             // 000000011F54: 279F9DCF
	v_accvgpr_write_b32 a114, v207                             // 000000011F58: D3D94072 180001CF
	s_mov_b32 s54, 0x8c                                        // 000000011F60: BEB600FF 0000008C
	v_add_i32 v205, s54, v204                                  // 000000011F68: D29C00CD 00039836
	v_cmp_lt_i32_e64 vcc, v205, 4                              // 000000011F70: D0C1006A 000109CD
	v_min_u32_e32 v205, 4, v205                                // 000000011F78: 1D9B9A84
	v_lshlrev_b32_e32 v205, 3, v205                            // 000000011F7C: 259B9A83
	v_lshrrev_b32_e64 v206, v205, -1                           // 000000011F80: D11000CE 000183CD
	v_accvgpr_read_b32 v207, a99                               // 000000011F88: D3D840CF 18000163
	v_cndmask_b32_e32 v207, 0, v207, vcc                       // 000000011F90: 019F9E80
	v_and_b32_e32 v207, v207, v206                             // 000000011F94: 279F9DCF
	v_accvgpr_write_b32 a99, v207                              // 000000011F98: D3D94063 180001CF
	v_accvgpr_read_b32 v207, a115                              // 000000011FA0: D3D840CF 18000173
	v_cndmask_b32_e32 v207, 0, v207, vcc                       // 000000011FA8: 019F9E80
	v_and_b32_e32 v207, v207, v206                             // 000000011FAC: 279F9DCF
	v_accvgpr_write_b32 a115, v207                             // 000000011FB0: D3D94073 180001CF
	s_mov_b32 s54, 0xc0                                        // 000000011FB8: BEB600FF 000000C0
	v_add_i32 v205, s54, v204                                  // 000000011FC0: D29C00CD 00039836
	v_cmp_lt_i32_e64 vcc, v205, 4                              // 000000011FC8: D0C1006A 000109CD
	v_min_u32_e32 v205, 4, v205                                // 000000011FD0: 1D9B9A84
	v_lshlrev_b32_e32 v205, 3, v205                            // 000000011FD4: 259B9A83
	v_lshrrev_b32_e64 v206, v205, -1                           // 000000011FD8: D11000CE 000183CD
	v_accvgpr_read_b32 v207, a100                              // 000000011FE0: D3D840CF 18000164
	v_cndmask_b32_e32 v207, 0, v207, vcc                       // 000000011FE8: 019F9E80
	v_and_b32_e32 v207, v207, v206                             // 000000011FEC: 279F9DCF
	v_accvgpr_write_b32 a100, v207                             // 000000011FF0: D3D94064 180001CF
	v_accvgpr_read_b32 v207, a116                              // 000000011FF8: D3D840CF 18000174
	v_cndmask_b32_e32 v207, 0, v207, vcc                       // 000000012000: 019F9E80
	v_and_b32_e32 v207, v207, v206                             // 000000012004: 279F9DCF
	v_accvgpr_write_b32 a116, v207                             // 000000012008: D3D94074 180001CF
	s_mov_b32 s54, 0xc4                                        // 000000012010: BEB600FF 000000C4
	v_add_i32 v205, s54, v204                                  // 000000012018: D29C00CD 00039836
	v_cmp_lt_i32_e64 vcc, v205, 4                              // 000000012020: D0C1006A 000109CD
	v_min_u32_e32 v205, 4, v205                                // 000000012028: 1D9B9A84
	v_lshlrev_b32_e32 v205, 3, v205                            // 00000001202C: 259B9A83
	v_lshrrev_b32_e64 v206, v205, -1                           // 000000012030: D11000CE 000183CD
	v_accvgpr_read_b32 v207, a101                              // 000000012038: D3D840CF 18000165
	v_cndmask_b32_e32 v207, 0, v207, vcc                       // 000000012040: 019F9E80
	v_and_b32_e32 v207, v207, v206                             // 000000012044: 279F9DCF
	v_accvgpr_write_b32 a101, v207                             // 000000012048: D3D94065 180001CF
	v_accvgpr_read_b32 v207, a117                              // 000000012050: D3D840CF 18000175
	v_cndmask_b32_e32 v207, 0, v207, vcc                       // 000000012058: 019F9E80
	v_and_b32_e32 v207, v207, v206                             // 00000001205C: 279F9DCF
	v_accvgpr_write_b32 a117, v207                             // 000000012060: D3D94075 180001CF
	s_mov_b32 s54, 0xc8                                        // 000000012068: BEB600FF 000000C8
	v_add_i32 v205, s54, v204                                  // 000000012070: D29C00CD 00039836
	v_cmp_lt_i32_e64 vcc, v205, 4                              // 000000012078: D0C1006A 000109CD
	v_min_u32_e32 v205, 4, v205                                // 000000012080: 1D9B9A84
	v_lshlrev_b32_e32 v205, 3, v205                            // 000000012084: 259B9A83
	v_lshrrev_b32_e64 v206, v205, -1                           // 000000012088: D11000CE 000183CD
	v_accvgpr_read_b32 v207, a102                              // 000000012090: D3D840CF 18000166
	v_cndmask_b32_e32 v207, 0, v207, vcc                       // 000000012098: 019F9E80
	v_and_b32_e32 v207, v207, v206                             // 00000001209C: 279F9DCF
	v_accvgpr_write_b32 a102, v207                             // 0000000120A0: D3D94066 180001CF
	v_accvgpr_read_b32 v207, a118                              // 0000000120A8: D3D840CF 18000176
	v_cndmask_b32_e32 v207, 0, v207, vcc                       // 0000000120B0: 019F9E80
	v_and_b32_e32 v207, v207, v206                             // 0000000120B4: 279F9DCF
	v_accvgpr_write_b32 a118, v207                             // 0000000120B8: D3D94076 180001CF
	s_mov_b32 s54, 0xcc                                        // 0000000120C0: BEB600FF 000000CC
	v_add_i32 v205, s54, v204                                  // 0000000120C8: D29C00CD 00039836
	v_cmp_lt_i32_e64 vcc, v205, 4                              // 0000000120D0: D0C1006A 000109CD
	v_min_u32_e32 v205, 4, v205                                // 0000000120D8: 1D9B9A84
	v_lshlrev_b32_e32 v205, 3, v205                            // 0000000120DC: 259B9A83
	v_lshrrev_b32_e64 v206, v205, -1                           // 0000000120E0: D11000CE 000183CD
	v_accvgpr_read_b32 v207, a103                              // 0000000120E8: D3D840CF 18000167
	v_cndmask_b32_e32 v207, 0, v207, vcc                       // 0000000120F0: 019F9E80
	v_and_b32_e32 v207, v207, v206                             // 0000000120F4: 279F9DCF
	v_accvgpr_write_b32 a103, v207                             // 0000000120F8: D3D94067 180001CF
	v_accvgpr_read_b32 v207, a119                              // 000000012100: D3D840CF 18000177
	v_cndmask_b32_e32 v207, 0, v207, vcc                       // 000000012108: 019F9E80
	v_and_b32_e32 v207, v207, v206                             // 00000001210C: 279F9DCF
	v_accvgpr_write_b32 a119, v207                             // 000000012110: D3D94077 180001CF
	s_waitcnt lgkmcnt(11)                                      // 000000012118: BF8CCB7F
	v_mfma_f32_16x16x32_fp8_fp8 v[100:103], a[88:89], v[4:5], 0// 00000001211C: D3F30064 0A020958
	v_mfma_f32_16x16x32_fp8_fp8 v[104:107], a[104:105], v[4:5], 0// 000000012124: D3F30068 0A020968
	v_mfma_f32_16x16x32_fp8_fp8 v[100:103], a[90:91], v[6:7], v[100:103]// 00000001212C: D3F30064 0D920D5A
	buffer_load_dwordx4 a[120:123], v231, s[16:19], 0 offen    // 000000012134: E05C1000 808478E7
	v_mfma_f32_16x16x32_fp8_fp8 v[104:107], a[106:107], v[6:7], v[104:107]// 00000001213C: D3F30068 0DA20D6A
	s_waitcnt lgkmcnt(10)                                      // 000000012144: BF8CCA7F
	v_mfma_f32_16x16x32_fp8_fp8 v[100:103], a[92:93], v[8:9], v[100:103]// 000000012148: D3F30064 0D92115C
	v_mfma_f32_16x16x32_fp8_fp8 v[104:107], a[108:109], v[8:9], v[104:107]// 000000012150: D3F30068 0DA2116C
	v_mfma_f32_16x16x32_fp8_fp8 v[100:103], a[94:95], v[10:11], v[100:103]// 000000012158: D3F30064 0D92155E
	buffer_load_dwordx4 a[124:127], v232, s[16:19], 0 offen    // 000000012160: E05C1000 80847CE8
	v_mfma_f32_16x16x32_fp8_fp8 v[104:107], a[110:111], v[10:11], v[104:107]// 000000012168: D3F30068 0DA2156E
	s_waitcnt lgkmcnt(9)                                       // 000000012170: BF8CC97F
	v_mfma_f32_16x16x32_fp8_fp8 v[100:103], a[96:97], v[12:13], v[100:103]// 000000012174: D3F30064 0D921960
	v_mfma_f32_16x16x32_fp8_fp8 v[104:107], a[112:113], v[12:13], v[104:107]// 00000001217C: D3F30068 0DA21970
	v_mfma_f32_16x16x32_fp8_fp8 v[100:103], a[98:99], v[14:15], v[100:103]// 000000012184: D3F30064 0D921D62
	buffer_load_dwordx4 a[128:131], v233, s[16:19], 0 offen    // 00000001218C: E05C1000 808480E9
	v_mfma_f32_16x16x32_fp8_fp8 v[104:107], a[114:115], v[14:15], v[104:107]// 000000012194: D3F30068 0DA21D72
	s_waitcnt lgkmcnt(8)                                       // 00000001219C: BF8CC87F
	v_mfma_f32_16x16x32_fp8_fp8 v[100:103], a[100:101], v[16:17], v[100:103]// 0000000121A0: D3F30064 0D922164
	v_mfma_f32_16x16x32_fp8_fp8 v[104:107], a[116:117], v[16:17], v[104:107]// 0000000121A8: D3F30068 0DA22174
	v_mfma_f32_16x16x32_fp8_fp8 v[100:103], a[102:103], v[18:19], v[100:103]// 0000000121B0: D3F30064 0D922566
	buffer_load_dwordx4 a[132:135], v234, s[16:19], 0 offen    // 0000000121B8: E05C1000 808484EA
	v_mfma_f32_16x16x32_fp8_fp8 v[104:107], a[118:119], v[18:19], v[104:107]// 0000000121C0: D3F30068 0DA22576
	s_waitcnt lgkmcnt(7)                                       // 0000000121C8: BF8CC77F
	v_mfma_f32_16x16x32_fp8_fp8 v[108:111], a[88:89], v[20:21], 0// 0000000121CC: D3F3006C 0A022958
	v_mfma_f32_16x16x32_fp8_fp8 v[112:115], a[104:105], v[20:21], 0// 0000000121D4: D3F30070 0A022968
	v_mfma_f32_16x16x32_fp8_fp8 v[108:111], a[90:91], v[22:23], v[108:111]// 0000000121DC: D3F3006C 0DB22D5A
	buffer_load_dwordx4 a[136:139], v231, s[16:19], 0 offen offset:1024// 0000000121E4: E05C1400 808488E7
	v_mfma_f32_16x16x32_fp8_fp8 v[112:115], a[106:107], v[22:23], v[112:115]// 0000000121EC: D3F30070 0DC22D6A
	s_waitcnt lgkmcnt(6)                                       // 0000000121F4: BF8CC67F
	v_mfma_f32_16x16x32_fp8_fp8 v[108:111], a[92:93], v[24:25], v[108:111]// 0000000121F8: D3F3006C 0DB2315C
	v_mfma_f32_16x16x32_fp8_fp8 v[112:115], a[108:109], v[24:25], v[112:115]// 000000012200: D3F30070 0DC2316C
	v_mfma_f32_16x16x32_fp8_fp8 v[108:111], a[94:95], v[26:27], v[108:111]// 000000012208: D3F3006C 0DB2355E
	buffer_load_dwordx4 a[140:143], v232, s[16:19], 0 offen offset:1024// 000000012210: E05C1400 80848CE8
	v_mfma_f32_16x16x32_fp8_fp8 v[112:115], a[110:111], v[26:27], v[112:115]// 000000012218: D3F30070 0DC2356E
	s_waitcnt lgkmcnt(5)                                       // 000000012220: BF8CC57F
	v_mfma_f32_16x16x32_fp8_fp8 v[108:111], a[96:97], v[28:29], v[108:111]// 000000012224: D3F3006C 0DB23960
	v_mfma_f32_16x16x32_fp8_fp8 v[112:115], a[112:113], v[28:29], v[112:115]// 00000001222C: D3F30070 0DC23970
	v_mfma_f32_16x16x32_fp8_fp8 v[108:111], a[98:99], v[30:31], v[108:111]// 000000012234: D3F3006C 0DB23D62
	buffer_load_dwordx4 a[144:147], v233, s[16:19], 0 offen offset:1024// 00000001223C: E05C1400 808490E9
	v_mfma_f32_16x16x32_fp8_fp8 v[112:115], a[114:115], v[30:31], v[112:115]// 000000012244: D3F30070 0DC23D72
	s_waitcnt lgkmcnt(4)                                       // 00000001224C: BF8CC47F
	v_mfma_f32_16x16x32_fp8_fp8 v[108:111], a[100:101], v[32:33], v[108:111]// 000000012250: D3F3006C 0DB24164
	v_mfma_f32_16x16x32_fp8_fp8 v[112:115], a[116:117], v[32:33], v[112:115]// 000000012258: D3F30070 0DC24174
	v_mfma_f32_16x16x32_fp8_fp8 v[108:111], a[102:103], v[34:35], v[108:111]// 000000012260: D3F3006C 0DB24566
	buffer_load_dwordx4 a[148:151], v234, s[16:19], 0 offen offset:1024// 000000012268: E05C1400 808494EA
	v_mfma_f32_16x16x32_fp8_fp8 v[112:115], a[118:119], v[34:35], v[112:115]// 000000012270: D3F30070 0DC24576
	s_waitcnt lgkmcnt(3)                                       // 000000012278: BF8CC37F
	v_mfma_f32_16x16x32_fp8_fp8 v[116:119], a[88:89], v[36:37], 0// 00000001227C: D3F30074 0A024958
	v_mfma_f32_16x16x32_fp8_fp8 v[120:123], a[104:105], v[36:37], 0// 000000012284: D3F30078 0A024968
	v_mfma_f32_16x16x32_fp8_fp8 v[116:119], a[90:91], v[38:39], v[116:119]// 00000001228C: D3F30074 0DD24D5A
	v_mfma_f32_16x16x32_fp8_fp8 v[120:123], a[106:107], v[38:39], v[120:123]// 000000012294: D3F30078 0DE24D6A
	s_waitcnt lgkmcnt(2)                                       // 00000001229C: BF8CC27F
	v_mfma_f32_16x16x32_fp8_fp8 v[116:119], a[92:93], v[40:41], v[116:119]// 0000000122A0: D3F30074 0DD2515C
	v_mfma_f32_16x16x32_fp8_fp8 v[120:123], a[108:109], v[40:41], v[120:123]// 0000000122A8: D3F30078 0DE2516C
	v_mfma_f32_16x16x32_fp8_fp8 v[116:119], a[94:95], v[42:43], v[116:119]// 0000000122B0: D3F30074 0DD2555E
	v_mfma_f32_16x16x32_fp8_fp8 v[120:123], a[110:111], v[42:43], v[120:123]// 0000000122B8: D3F30078 0DE2556E
	s_waitcnt lgkmcnt(1)                                       // 0000000122C0: BF8CC17F
	v_mfma_f32_16x16x32_fp8_fp8 v[116:119], a[96:97], v[44:45], v[116:119]// 0000000122C4: D3F30074 0DD25960
	v_mfma_f32_16x16x32_fp8_fp8 v[120:123], a[112:113], v[44:45], v[120:123]// 0000000122CC: D3F30078 0DE25970
	v_mfma_f32_16x16x32_fp8_fp8 v[116:119], a[98:99], v[46:47], v[116:119]// 0000000122D4: D3F30074 0DD25D62
	v_mfma_f32_16x16x32_fp8_fp8 v[120:123], a[114:115], v[46:47], v[120:123]// 0000000122DC: D3F30078 0DE25D72
	s_waitcnt lgkmcnt(0)                                       // 0000000122E4: BF8CC07F
	v_mfma_f32_16x16x32_fp8_fp8 v[116:119], a[100:101], v[48:49], v[116:119]// 0000000122E8: D3F30074 0DD26164
	v_mfma_f32_16x16x32_fp8_fp8 v[120:123], a[116:117], v[48:49], v[120:123]// 0000000122F0: D3F30078 0DE26174
	v_mfma_f32_16x16x32_fp8_fp8 v[116:119], a[102:103], v[50:51], v[116:119]// 0000000122F8: D3F30074 0DD26566
	v_mfma_f32_16x16x32_fp8_fp8 v[120:123], a[118:119], v[50:51], v[120:123]// 000000012300: D3F30078 0DE26576
	s_addk_i32 s64, 0x100                                      // 000000012308: B7400100

000000000001230c <label_3EC3>:
	s_cmp_lt_i32 s64, s62                                      // 00000001230C: BF043E40
	s_cbranch_scc0 label_465C                                  // 000000012310: BF840797
	s_waitcnt vmcnt(10)                                        // 000000012314: BF8C0F7A
	v_mfma_f32_16x16x32_fp8_fp8 v[4:7], a[56:57], a[0:1], 0    // 000000012318: D3F30004 1A020138
	s_add_u32 s12, s86, s69                                    // 000000012320: 800C4556
	s_addc_u32 s13, s87, 0                                     // 000000012324: 820D8057
	v_mfma_f32_16x16x32_fp8_fp8 v[4:7], a[58:59], a[2:3], v[4:7]// 000000012328: D3F30004 1C12053A
	s_add_u32 s16, s88, s70                                    // 000000012330: 80104658
	s_addc_u32 s17, s89, 0                                     // 000000012334: 82118059
	v_mfma_f32_16x16x32_fp8_fp8 v[4:7], a[60:61], a[4:5], v[4:7]// 000000012338: D3F30004 1C12093C
	buffer_load_dwordx4 a[24:27], v229, s[12:15], 0 offen      // 000000012340: E05C1000 808318E5
	v_mfma_f32_16x16x32_fp8_fp8 v[4:7], a[62:63], a[6:7], v[4:7]// 000000012348: D3F30004 1C120D3E
	s_add_u32 s20, s90, s71                                    // 000000012350: 8014475A
	s_addc_u32 s21, s91, 0                                     // 000000012354: 8215805B
	v_mfma_f32_16x16x32_fp8_fp8 v[8:11], a[64:65], a[0:1], 0   // 000000012358: D3F30008 1A020140
	s_add_u32 s24, s92, s71                                    // 000000012360: 8018475C
	s_addc_u32 s25, s93, 0                                     // 000000012364: 8219805D
	v_mfma_f32_16x16x32_fp8_fp8 v[8:11], a[66:67], a[2:3], v[8:11]// 000000012368: D3F30008 1C220542
	s_add_u32 s69, s69, 0x1000                                 // 000000012370: 8045FF45 00001000
	s_add_u32 s70, s70, 0x8000                                 // 000000012378: 8046FF46 00008000
	v_mfma_f32_16x16x32_fp8_fp8 v[8:11], a[68:69], a[4:5], v[8:11]// 000000012380: D3F30008 1C220944
	buffer_load_dwordx4 a[28:31], v230, s[12:15], 0 offen      // 000000012388: E05C1000 80831CE6
	v_mfma_f32_16x16x32_fp8_fp8 v[8:11], a[70:71], a[6:7], v[8:11]// 000000012390: D3F30008 1C220D46
	s_add_u32 s71, s71, 0x400                                  // 000000012398: 8047FF47 00000400
	v_mfma_f32_16x16x32_fp8_fp8 v[12:15], a[72:73], a[0:1], 0  // 0000000123A0: D3F3000C 1A020148
	v_mfma_f32_16x16x32_fp8_fp8 v[12:15], a[74:75], a[2:3], v[12:15]// 0000000123A8: D3F3000C 1C32054A
	v_mfma_f32_16x16x32_fp8_fp8 v[12:15], a[76:77], a[4:5], v[12:15]// 0000000123B0: D3F3000C 1C32094C
	buffer_load_dwordx4 a[32:35], v229, s[12:15], 0 offen offset:1024// 0000000123B8: E05C1400 808320E5
	v_mfma_f32_16x16x32_fp8_fp8 v[12:15], a[78:79], a[6:7], v[12:15]// 0000000123C0: D3F3000C 1C320D4E
	v_mfma_f32_16x16x32_fp8_fp8 v[16:19], a[80:81], a[0:1], 0  // 0000000123C8: D3F30010 1A020150
	v_mfma_f32_16x16x32_fp8_fp8 v[16:19], a[82:83], a[2:3], v[16:19]// 0000000123D0: D3F30010 1C420552
	v_mfma_f32_16x16x32_fp8_fp8 v[16:19], a[84:85], a[4:5], v[16:19]// 0000000123D8: D3F30010 1C420954
	buffer_load_dwordx4 a[36:39], v230, s[12:15], 0 offen offset:1024// 0000000123E0: E05C1400 808324E6
	v_mfma_f32_16x16x32_fp8_fp8 v[16:19], a[86:87], a[6:7], v[16:19]// 0000000123E8: D3F30010 1C420D56
	v_mfma_f32_16x16x32_fp8_fp8 v[20:23], a[56:57], a[8:9], 0  // 0000000123F0: D3F30014 1A021138
	v_mfma_f32_16x16x32_fp8_fp8 v[20:23], a[58:59], a[10:11], v[20:23]// 0000000123F8: D3F30014 1C52153A
	v_mfma_f32_16x16x32_fp8_fp8 v[20:23], a[60:61], a[12:13], v[20:23]// 000000012400: D3F30014 1C52193C
	buffer_load_dwordx4 a[40:43], v229, s[12:15], 0 offen offset:2048// 000000012408: E05C1800 808328E5
	v_mfma_f32_16x16x32_fp8_fp8 v[20:23], a[62:63], a[14:15], v[20:23]// 000000012410: D3F30014 1C521D3E
	v_mfma_f32_16x16x32_fp8_fp8 v[24:27], a[64:65], a[8:9], 0  // 000000012418: D3F30018 1A021140
	v_mfma_f32_16x16x32_fp8_fp8 v[24:27], a[66:67], a[10:11], v[24:27]// 000000012420: D3F30018 1C621542
	v_mfma_f32_16x16x32_fp8_fp8 v[24:27], a[68:69], a[12:13], v[24:27]// 000000012428: D3F30018 1C621944
	buffer_load_dwordx4 a[44:47], v230, s[12:15], 0 offen offset:2048// 000000012430: E05C1800 80832CE6
	v_mfma_f32_16x16x32_fp8_fp8 v[24:27], a[70:71], a[14:15], v[24:27]// 000000012438: D3F30018 1C621D46
	v_mfma_f32_16x16x32_fp8_fp8 v[28:31], a[72:73], a[8:9], 0  // 000000012440: D3F3001C 1A021148
	v_mfma_f32_16x16x32_fp8_fp8 v[28:31], a[74:75], a[10:11], v[28:31]// 000000012448: D3F3001C 1C72154A
	v_mfma_f32_16x16x32_fp8_fp8 v[28:31], a[76:77], a[12:13], v[28:31]// 000000012450: D3F3001C 1C72194C
	buffer_load_dwordx4 a[48:51], v229, s[12:15], 0 offen offset:3072// 000000012458: E05C1C00 808330E5
	v_mfma_f32_16x16x32_fp8_fp8 v[28:31], a[78:79], a[14:15], v[28:31]// 000000012460: D3F3001C 1C721D4E
	v_mfma_f32_16x16x32_fp8_fp8 v[32:35], a[80:81], a[8:9], 0  // 000000012468: D3F30020 1A021150
	v_mfma_f32_16x16x32_fp8_fp8 v[32:35], a[82:83], a[10:11], v[32:35]// 000000012470: D3F30020 1C821552
	v_mfma_f32_16x16x32_fp8_fp8 v[32:35], a[84:85], a[12:13], v[32:35]// 000000012478: D3F30020 1C821954
	buffer_load_dwordx4 a[52:55], v230, s[12:15], 0 offen offset:3072// 000000012480: E05C1C00 808334E6
	v_mfma_f32_16x16x32_fp8_fp8 v[32:35], a[86:87], a[14:15], v[32:35]// 000000012488: D3F30020 1C821D56
	v_mfma_f32_16x16x32_fp8_fp8 v[36:39], a[56:57], a[16:17], 0// 000000012490: D3F30024 1A022138
	v_mfma_f32_16x16x32_fp8_fp8 v[36:39], a[58:59], a[18:19], v[36:39]// 000000012498: D3F30024 1C92253A
	v_mfma_f32_16x16x32_fp8_fp8 v[36:39], a[60:61], a[20:21], v[36:39]// 0000000124A0: D3F30024 1C92293C
	v_mfma_f32_16x16x32_fp8_fp8 v[36:39], a[62:63], a[22:23], v[36:39]// 0000000124A8: D3F30024 1C922D3E
	v_mfma_f32_16x16x32_fp8_fp8 v[40:43], a[64:65], a[16:17], 0// 0000000124B0: D3F30028 1A022140
	v_mfma_f32_16x16x32_fp8_fp8 v[40:43], a[66:67], a[18:19], v[40:43]// 0000000124B8: D3F30028 1CA22542
	v_mfma_f32_16x16x32_fp8_fp8 v[40:43], a[68:69], a[20:21], v[40:43]// 0000000124C0: D3F30028 1CA22944
	v_mfma_f32_16x16x32_fp8_fp8 v[40:43], a[70:71], a[22:23], v[40:43]// 0000000124C8: D3F30028 1CA22D46
	v_mfma_f32_16x16x32_fp8_fp8 v[44:47], a[72:73], a[16:17], 0// 0000000124D0: D3F3002C 1A022148
	v_mfma_f32_16x16x32_fp8_fp8 v[44:47], a[74:75], a[18:19], v[44:47]// 0000000124D8: D3F3002C 1CB2254A
	v_mfma_f32_16x16x32_fp8_fp8 v[44:47], a[76:77], a[20:21], v[44:47]// 0000000124E0: D3F3002C 1CB2294C
	v_mfma_f32_16x16x32_fp8_fp8 v[44:47], a[78:79], a[22:23], v[44:47]// 0000000124E8: D3F3002C 1CB22D4E
	v_mfma_f32_16x16x32_fp8_fp8 v[48:51], a[80:81], a[16:17], 0// 0000000124F0: D3F30030 1A022150
	v_mfma_f32_16x16x32_fp8_fp8 v[48:51], a[82:83], a[18:19], v[48:51]// 0000000124F8: D3F30030 1CC22552
	v_mfma_f32_16x16x32_fp8_fp8 v[48:51], a[84:85], a[20:21], v[48:51]// 000000012500: D3F30030 1CC22954
	v_mfma_f32_16x16x32_fp8_fp8 v[48:51], a[86:87], a[22:23], v[48:51]// 000000012508: D3F30030 1CC22D56
	s_waitcnt vmcnt(16)                                        // 000000012510: BF8C4F70
	v_pk_mul_f32 v[4:5], v[148:149], v[4:5]                    // 000000012514: D3B14004 18020994
	v_pk_mul_f32 v[6:7], v[148:149], v[6:7]                    // 00000001251C: D3B14006 18020D94
	v_mul_f32_dpp v4, v155, v4 row_newbcast:0 row_mask:0xf bank_mask:0xf// 000000012524: 0A0808FA FF01509B
	v_mul_f32_dpp v5, v155, v5 row_newbcast:1 row_mask:0xf bank_mask:0xf// 00000001252C: 0A0A0AFA FF01519B
	v_mul_f32_dpp v6, v155, v6 row_newbcast:2 row_mask:0xf bank_mask:0xf// 000000012534: 0A0C0CFA FF01529B
	v_mul_f32_dpp v7, v155, v7 row_newbcast:3 row_mask:0xf bank_mask:0xf// 00000001253C: 0A0E0EFA FF01539B
	v_pk_mul_f32 v[8:9], v[148:149], v[8:9]                    // 000000012544: D3B14008 18021194
	v_pk_mul_f32 v[10:11], v[148:149], v[10:11]                // 00000001254C: D3B1400A 18021594
	v_mul_f32_dpp v8, v155, v8 row_newbcast:4 row_mask:0xf bank_mask:0xf// 000000012554: 0A1010FA FF01549B
	v_mul_f32_dpp v9, v155, v9 row_newbcast:5 row_mask:0xf bank_mask:0xf// 00000001255C: 0A1212FA FF01559B
	v_mul_f32_dpp v10, v155, v10 row_newbcast:6 row_mask:0xf bank_mask:0xf// 000000012564: 0A1414FA FF01569B
	v_mul_f32_dpp v11, v155, v11 row_newbcast:7 row_mask:0xf bank_mask:0xf// 00000001256C: 0A1616FA FF01579B
	v_pk_mul_f32 v[12:13], v[148:149], v[12:13]                // 000000012574: D3B1400C 18021994
	v_pk_mul_f32 v[14:15], v[148:149], v[14:15]                // 00000001257C: D3B1400E 18021D94
	v_mul_f32_dpp v12, v155, v12 row_newbcast:8 row_mask:0xf bank_mask:0xf// 000000012584: 0A1818FA FF01589B
	v_mul_f32_dpp v13, v155, v13 row_newbcast:9 row_mask:0xf bank_mask:0xf// 00000001258C: 0A1A1AFA FF01599B
	v_mul_f32_dpp v14, v155, v14 row_newbcast:10 row_mask:0xf bank_mask:0xf// 000000012594: 0A1C1CFA FF015A9B
	v_mul_f32_dpp v15, v155, v15 row_newbcast:11 row_mask:0xf bank_mask:0xf// 00000001259C: 0A1E1EFA FF015B9B
	v_pk_mul_f32 v[16:17], v[148:149], v[16:17]                // 0000000125A4: D3B14010 18022194
	v_pk_mul_f32 v[18:19], v[148:149], v[18:19]                // 0000000125AC: D3B14012 18022594
	v_mul_f32_dpp v16, v155, v16 row_newbcast:12 row_mask:0xf bank_mask:0xf// 0000000125B4: 0A2020FA FF015C9B
	v_mul_f32_dpp v17, v155, v17 row_newbcast:13 row_mask:0xf bank_mask:0xf// 0000000125BC: 0A2222FA FF015D9B
	v_mul_f32_dpp v18, v155, v18 row_newbcast:14 row_mask:0xf bank_mask:0xf// 0000000125C4: 0A2424FA FF015E9B
	v_mul_f32_dpp v19, v155, v19 row_newbcast:15 row_mask:0xf bank_mask:0xf// 0000000125CC: 0A2626FA FF015F9B
	v_pk_mul_f32 v[20:21], v[150:151], v[20:21]                // 0000000125D4: D3B14014 18022996
	v_pk_mul_f32 v[22:23], v[150:151], v[22:23]                // 0000000125DC: D3B14016 18022D96
	v_mul_f32_dpp v20, v155, v20 row_newbcast:0 row_mask:0xf bank_mask:0xf// 0000000125E4: 0A2828FA FF01509B
	v_mul_f32_dpp v21, v155, v21 row_newbcast:1 row_mask:0xf bank_mask:0xf// 0000000125EC: 0A2A2AFA FF01519B
	v_mul_f32_dpp v22, v155, v22 row_newbcast:2 row_mask:0xf bank_mask:0xf// 0000000125F4: 0A2C2CFA FF01529B
	v_mul_f32_dpp v23, v155, v23 row_newbcast:3 row_mask:0xf bank_mask:0xf// 0000000125FC: 0A2E2EFA FF01539B
	v_pk_mul_f32 v[24:25], v[150:151], v[24:25]                // 000000012604: D3B14018 18023196
	v_pk_mul_f32 v[26:27], v[150:151], v[26:27]                // 00000001260C: D3B1401A 18023596
	v_mul_f32_dpp v24, v155, v24 row_newbcast:4 row_mask:0xf bank_mask:0xf// 000000012614: 0A3030FA FF01549B
	v_mul_f32_dpp v25, v155, v25 row_newbcast:5 row_mask:0xf bank_mask:0xf// 00000001261C: 0A3232FA FF01559B
	v_mul_f32_dpp v26, v155, v26 row_newbcast:6 row_mask:0xf bank_mask:0xf// 000000012624: 0A3434FA FF01569B
	v_mul_f32_dpp v27, v155, v27 row_newbcast:7 row_mask:0xf bank_mask:0xf// 00000001262C: 0A3636FA FF01579B
	v_pk_mul_f32 v[28:29], v[150:151], v[28:29]                // 000000012634: D3B1401C 18023996
	v_pk_mul_f32 v[30:31], v[150:151], v[30:31]                // 00000001263C: D3B1401E 18023D96
	v_mul_f32_dpp v28, v155, v28 row_newbcast:8 row_mask:0xf bank_mask:0xf// 000000012644: 0A3838FA FF01589B
	v_mul_f32_dpp v29, v155, v29 row_newbcast:9 row_mask:0xf bank_mask:0xf// 00000001264C: 0A3A3AFA FF01599B
	v_mul_f32_dpp v30, v155, v30 row_newbcast:10 row_mask:0xf bank_mask:0xf// 000000012654: 0A3C3CFA FF015A9B
	v_mul_f32_dpp v31, v155, v31 row_newbcast:11 row_mask:0xf bank_mask:0xf// 00000001265C: 0A3E3EFA FF015B9B
	v_pk_mul_f32 v[32:33], v[150:151], v[32:33]                // 000000012664: D3B14020 18024196
	v_pk_mul_f32 v[34:35], v[150:151], v[34:35]                // 00000001266C: D3B14022 18024596
	v_mul_f32_dpp v32, v155, v32 row_newbcast:12 row_mask:0xf bank_mask:0xf// 000000012674: 0A4040FA FF015C9B
	v_mul_f32_dpp v33, v155, v33 row_newbcast:13 row_mask:0xf bank_mask:0xf// 00000001267C: 0A4242FA FF015D9B
	v_mul_f32_dpp v34, v155, v34 row_newbcast:14 row_mask:0xf bank_mask:0xf// 000000012684: 0A4444FA FF015E9B
	v_mul_f32_dpp v35, v155, v35 row_newbcast:15 row_mask:0xf bank_mask:0xf// 00000001268C: 0A4646FA FF015F9B
	v_pk_mul_f32 v[36:37], v[152:153], v[36:37]                // 000000012694: D3B14024 18024998
	v_pk_mul_f32 v[38:39], v[152:153], v[38:39]                // 00000001269C: D3B14026 18024D98
	v_mul_f32_dpp v36, v155, v36 row_newbcast:0 row_mask:0xf bank_mask:0xf// 0000000126A4: 0A4848FA FF01509B
	v_mul_f32_dpp v37, v155, v37 row_newbcast:1 row_mask:0xf bank_mask:0xf// 0000000126AC: 0A4A4AFA FF01519B
	v_mul_f32_dpp v38, v155, v38 row_newbcast:2 row_mask:0xf bank_mask:0xf// 0000000126B4: 0A4C4CFA FF01529B
	v_mul_f32_dpp v39, v155, v39 row_newbcast:3 row_mask:0xf bank_mask:0xf// 0000000126BC: 0A4E4EFA FF01539B
	v_pk_mul_f32 v[40:41], v[152:153], v[40:41]                // 0000000126C4: D3B14028 18025198
	v_pk_mul_f32 v[42:43], v[152:153], v[42:43]                // 0000000126CC: D3B1402A 18025598
	v_mul_f32_dpp v40, v155, v40 row_newbcast:4 row_mask:0xf bank_mask:0xf// 0000000126D4: 0A5050FA FF01549B
	v_mul_f32_dpp v41, v155, v41 row_newbcast:5 row_mask:0xf bank_mask:0xf// 0000000126DC: 0A5252FA FF01559B
	v_mul_f32_dpp v42, v155, v42 row_newbcast:6 row_mask:0xf bank_mask:0xf// 0000000126E4: 0A5454FA FF01569B
	v_mul_f32_dpp v43, v155, v43 row_newbcast:7 row_mask:0xf bank_mask:0xf// 0000000126EC: 0A5656FA FF01579B
	v_pk_mul_f32 v[44:45], v[152:153], v[44:45]                // 0000000126F4: D3B1402C 18025998
	v_pk_mul_f32 v[46:47], v[152:153], v[46:47]                // 0000000126FC: D3B1402E 18025D98
	v_mul_f32_dpp v44, v155, v44 row_newbcast:8 row_mask:0xf bank_mask:0xf// 000000012704: 0A5858FA FF01589B
	v_mul_f32_dpp v45, v155, v45 row_newbcast:9 row_mask:0xf bank_mask:0xf// 00000001270C: 0A5A5AFA FF01599B
	v_mul_f32_dpp v46, v155, v46 row_newbcast:10 row_mask:0xf bank_mask:0xf// 000000012714: 0A5C5CFA FF015A9B
	v_mul_f32_dpp v47, v155, v47 row_newbcast:11 row_mask:0xf bank_mask:0xf// 00000001271C: 0A5E5EFA FF015B9B
	v_pk_mul_f32 v[48:49], v[152:153], v[48:49]                // 000000012724: D3B14030 18026198
	v_pk_mul_f32 v[50:51], v[152:153], v[50:51]                // 00000001272C: D3B14032 18026598
	v_mul_f32_dpp v48, v155, v48 row_newbcast:12 row_mask:0xf bank_mask:0xf// 000000012734: 0A6060FA FF015C9B
	v_mul_f32_dpp v49, v155, v49 row_newbcast:13 row_mask:0xf bank_mask:0xf// 00000001273C: 0A6262FA FF015D9B
	v_mul_f32_dpp v50, v155, v50 row_newbcast:14 row_mask:0xf bank_mask:0xf// 000000012744: 0A6464FA FF015E9B
	v_mul_f32_dpp v51, v155, v51 row_newbcast:15 row_mask:0xf bank_mask:0xf// 00000001274C: 0A6666FA FF015F9B
	v_add_u32_e32 v204, s64, v221                              // 000000012754: 6999BA40
	v_add_u32_e32 v205, 0, v204                                // 000000012758: 699B9880
	v_cmp_lt_u32_e64 s[98:99], v205, v218                      // 00000001275C: D0C90062 0003B5CD
	s_nop 0                                                    // 000000012764: BF800000
	v_cndmask_b32_e64 v4, v222, v4, s[98:99]                   // 000000012768: D1000004 018A09DE
	v_add_u32_e32 v205, 1, v204                                // 000000012770: 699B9881
	v_cmp_lt_u32_e64 s[98:99], v205, v218                      // 000000012774: D0C90062 0003B5CD
	s_nop 0                                                    // 00000001277C: BF800000
	v_cndmask_b32_e64 v5, v222, v5, s[98:99]                   // 000000012780: D1000005 018A0BDE
	v_add_u32_e32 v205, 2, v204                                // 000000012788: 699B9882
	v_cmp_lt_u32_e64 s[98:99], v205, v218                      // 00000001278C: D0C90062 0003B5CD
	s_nop 0                                                    // 000000012794: BF800000
	v_cndmask_b32_e64 v6, v222, v6, s[98:99]                   // 000000012798: D1000006 018A0DDE
	v_add_u32_e32 v205, 3, v204                                // 0000000127A0: 699B9883
	v_cmp_lt_u32_e64 s[98:99], v205, v218                      // 0000000127A4: D0C90062 0003B5CD
	s_nop 0                                                    // 0000000127AC: BF800000
	v_cndmask_b32_e64 v7, v222, v7, s[98:99]                   // 0000000127B0: D1000007 018A0FDE
	v_add_u32_e32 v205, 64, v204                               // 0000000127B8: 699B98C0
	v_cmp_lt_u32_e64 s[98:99], v205, v218                      // 0000000127BC: D0C90062 0003B5CD
	s_nop 0                                                    // 0000000127C4: BF800000
	v_cndmask_b32_e64 v8, v222, v8, s[98:99]                   // 0000000127C8: D1000008 018A11DE
	v_add_u32_e32 v205, 0x41, v204                             // 0000000127D0: 699B98FF 00000041
	v_cmp_lt_u32_e64 s[98:99], v205, v218                      // 0000000127D8: D0C90062 0003B5CD
	s_nop 0                                                    // 0000000127E0: BF800000
	v_cndmask_b32_e64 v9, v222, v9, s[98:99]                   // 0000000127E4: D1000009 018A13DE
	v_add_u32_e32 v205, 0x42, v204                             // 0000000127EC: 699B98FF 00000042
	v_cmp_lt_u32_e64 s[98:99], v205, v218                      // 0000000127F4: D0C90062 0003B5CD
	s_nop 0                                                    // 0000000127FC: BF800000
	v_cndmask_b32_e64 v10, v222, v10, s[98:99]                 // 000000012800: D100000A 018A15DE
	v_add_u32_e32 v205, 0x43, v204                             // 000000012808: 699B98FF 00000043
	v_cmp_lt_u32_e64 s[98:99], v205, v218                      // 000000012810: D0C90062 0003B5CD
	s_nop 0                                                    // 000000012818: BF800000
	v_cndmask_b32_e64 v11, v222, v11, s[98:99]                 // 00000001281C: D100000B 018A17DE
	v_add_u32_e32 v205, 0x80, v204                             // 000000012824: 699B98FF 00000080
	v_cmp_lt_u32_e64 s[98:99], v205, v218                      // 00000001282C: D0C90062 0003B5CD
	s_nop 0                                                    // 000000012834: BF800000
	v_cndmask_b32_e64 v12, v222, v12, s[98:99]                 // 000000012838: D100000C 018A19DE
	v_add_u32_e32 v205, 0x81, v204                             // 000000012840: 699B98FF 00000081
	v_cmp_lt_u32_e64 s[98:99], v205, v218                      // 000000012848: D0C90062 0003B5CD
	s_nop 0                                                    // 000000012850: BF800000
	v_cndmask_b32_e64 v13, v222, v13, s[98:99]                 // 000000012854: D100000D 018A1BDE
	v_add_u32_e32 v205, 0x82, v204                             // 00000001285C: 699B98FF 00000082
	v_cmp_lt_u32_e64 s[98:99], v205, v218                      // 000000012864: D0C90062 0003B5CD
	s_nop 0                                                    // 00000001286C: BF800000
	v_cndmask_b32_e64 v14, v222, v14, s[98:99]                 // 000000012870: D100000E 018A1DDE
	v_add_u32_e32 v205, 0x83, v204                             // 000000012878: 699B98FF 00000083
	v_cmp_lt_u32_e64 s[98:99], v205, v218                      // 000000012880: D0C90062 0003B5CD
	s_nop 0                                                    // 000000012888: BF800000
	v_cndmask_b32_e64 v15, v222, v15, s[98:99]                 // 00000001288C: D100000F 018A1FDE
	v_add_u32_e32 v205, 0xc0, v204                             // 000000012894: 699B98FF 000000C0
	v_cmp_lt_u32_e64 s[98:99], v205, v218                      // 00000001289C: D0C90062 0003B5CD
	s_nop 0                                                    // 0000000128A4: BF800000
	v_cndmask_b32_e64 v16, v222, v16, s[98:99]                 // 0000000128A8: D1000010 018A21DE
	v_add_u32_e32 v205, 0xc1, v204                             // 0000000128B0: 699B98FF 000000C1
	v_cmp_lt_u32_e64 s[98:99], v205, v218                      // 0000000128B8: D0C90062 0003B5CD
	s_nop 0                                                    // 0000000128C0: BF800000
	v_cndmask_b32_e64 v17, v222, v17, s[98:99]                 // 0000000128C4: D1000011 018A23DE
	v_add_u32_e32 v205, 0xc2, v204                             // 0000000128CC: 699B98FF 000000C2
	v_cmp_lt_u32_e64 s[98:99], v205, v218                      // 0000000128D4: D0C90062 0003B5CD
	s_nop 0                                                    // 0000000128DC: BF800000
	v_cndmask_b32_e64 v18, v222, v18, s[98:99]                 // 0000000128E0: D1000012 018A25DE
	v_add_u32_e32 v205, 0xc3, v204                             // 0000000128E8: 699B98FF 000000C3
	v_cmp_lt_u32_e64 s[98:99], v205, v218                      // 0000000128F0: D0C90062 0003B5CD
	s_nop 0                                                    // 0000000128F8: BF800000
	v_cndmask_b32_e64 v19, v222, v19, s[98:99]                 // 0000000128FC: D1000013 018A27DE
	v_add_u32_e32 v205, 0, v204                                // 000000012904: 699B9880
	v_cmp_lt_u32_e64 s[98:99], v205, v219                      // 000000012908: D0C90062 0003B7CD
	s_nop 0                                                    // 000000012910: BF800000
	v_cndmask_b32_e64 v20, v222, v20, s[98:99]                 // 000000012914: D1000014 018A29DE
	v_add_u32_e32 v205, 1, v204                                // 00000001291C: 699B9881
	v_cmp_lt_u32_e64 s[98:99], v205, v219                      // 000000012920: D0C90062 0003B7CD
	s_nop 0                                                    // 000000012928: BF800000
	v_cndmask_b32_e64 v21, v222, v21, s[98:99]                 // 00000001292C: D1000015 018A2BDE
	v_add_u32_e32 v205, 2, v204                                // 000000012934: 699B9882
	v_cmp_lt_u32_e64 s[98:99], v205, v219                      // 000000012938: D0C90062 0003B7CD
	s_nop 0                                                    // 000000012940: BF800000
	v_cndmask_b32_e64 v22, v222, v22, s[98:99]                 // 000000012944: D1000016 018A2DDE
	v_add_u32_e32 v205, 3, v204                                // 00000001294C: 699B9883
	v_cmp_lt_u32_e64 s[98:99], v205, v219                      // 000000012950: D0C90062 0003B7CD
	s_nop 0                                                    // 000000012958: BF800000
	v_cndmask_b32_e64 v23, v222, v23, s[98:99]                 // 00000001295C: D1000017 018A2FDE
	v_add_u32_e32 v205, 64, v204                               // 000000012964: 699B98C0
	v_cmp_lt_u32_e64 s[98:99], v205, v219                      // 000000012968: D0C90062 0003B7CD
	s_nop 0                                                    // 000000012970: BF800000
	v_cndmask_b32_e64 v24, v222, v24, s[98:99]                 // 000000012974: D1000018 018A31DE
	v_add_u32_e32 v205, 0x41, v204                             // 00000001297C: 699B98FF 00000041
	v_cmp_lt_u32_e64 s[98:99], v205, v219                      // 000000012984: D0C90062 0003B7CD
	s_nop 0                                                    // 00000001298C: BF800000
	v_cndmask_b32_e64 v25, v222, v25, s[98:99]                 // 000000012990: D1000019 018A33DE
	v_add_u32_e32 v205, 0x42, v204                             // 000000012998: 699B98FF 00000042
	v_cmp_lt_u32_e64 s[98:99], v205, v219                      // 0000000129A0: D0C90062 0003B7CD
	s_nop 0                                                    // 0000000129A8: BF800000
	v_cndmask_b32_e64 v26, v222, v26, s[98:99]                 // 0000000129AC: D100001A 018A35DE
	v_add_u32_e32 v205, 0x43, v204                             // 0000000129B4: 699B98FF 00000043
	v_cmp_lt_u32_e64 s[98:99], v205, v219                      // 0000000129BC: D0C90062 0003B7CD
	s_nop 0                                                    // 0000000129C4: BF800000
	v_cndmask_b32_e64 v27, v222, v27, s[98:99]                 // 0000000129C8: D100001B 018A37DE
	v_add_u32_e32 v205, 0x80, v204                             // 0000000129D0: 699B98FF 00000080
	v_cmp_lt_u32_e64 s[98:99], v205, v219                      // 0000000129D8: D0C90062 0003B7CD
	s_nop 0                                                    // 0000000129E0: BF800000
	v_cndmask_b32_e64 v28, v222, v28, s[98:99]                 // 0000000129E4: D100001C 018A39DE
	v_add_u32_e32 v205, 0x81, v204                             // 0000000129EC: 699B98FF 00000081
	v_cmp_lt_u32_e64 s[98:99], v205, v219                      // 0000000129F4: D0C90062 0003B7CD
	s_nop 0                                                    // 0000000129FC: BF800000
	v_cndmask_b32_e64 v29, v222, v29, s[98:99]                 // 000000012A00: D100001D 018A3BDE
	v_add_u32_e32 v205, 0x82, v204                             // 000000012A08: 699B98FF 00000082
	v_cmp_lt_u32_e64 s[98:99], v205, v219                      // 000000012A10: D0C90062 0003B7CD
	s_nop 0                                                    // 000000012A18: BF800000
	v_cndmask_b32_e64 v30, v222, v30, s[98:99]                 // 000000012A1C: D100001E 018A3DDE
	v_add_u32_e32 v205, 0x83, v204                             // 000000012A24: 699B98FF 00000083
	v_cmp_lt_u32_e64 s[98:99], v205, v219                      // 000000012A2C: D0C90062 0003B7CD
	s_nop 0                                                    // 000000012A34: BF800000
	v_cndmask_b32_e64 v31, v222, v31, s[98:99]                 // 000000012A38: D100001F 018A3FDE
	v_add_u32_e32 v205, 0xc0, v204                             // 000000012A40: 699B98FF 000000C0
	v_cmp_lt_u32_e64 s[98:99], v205, v219                      // 000000012A48: D0C90062 0003B7CD
	s_nop 0                                                    // 000000012A50: BF800000
	v_cndmask_b32_e64 v32, v222, v32, s[98:99]                 // 000000012A54: D1000020 018A41DE
	v_add_u32_e32 v205, 0xc1, v204                             // 000000012A5C: 699B98FF 000000C1
	v_cmp_lt_u32_e64 s[98:99], v205, v219                      // 000000012A64: D0C90062 0003B7CD
	s_nop 0                                                    // 000000012A6C: BF800000
	v_cndmask_b32_e64 v33, v222, v33, s[98:99]                 // 000000012A70: D1000021 018A43DE
	v_add_u32_e32 v205, 0xc2, v204                             // 000000012A78: 699B98FF 000000C2
	v_cmp_lt_u32_e64 s[98:99], v205, v219                      // 000000012A80: D0C90062 0003B7CD
	s_nop 0                                                    // 000000012A88: BF800000
	v_cndmask_b32_e64 v34, v222, v34, s[98:99]                 // 000000012A8C: D1000022 018A45DE
	v_add_u32_e32 v205, 0xc3, v204                             // 000000012A94: 699B98FF 000000C3
	v_cmp_lt_u32_e64 s[98:99], v205, v219                      // 000000012A9C: D0C90062 0003B7CD
	s_nop 0                                                    // 000000012AA4: BF800000
	v_cndmask_b32_e64 v35, v222, v35, s[98:99]                 // 000000012AA8: D1000023 018A47DE
	v_add_u32_e32 v205, 0, v204                                // 000000012AB0: 699B9880
	v_cmp_lt_u32_e64 s[98:99], v205, v220                      // 000000012AB4: D0C90062 0003B9CD
	s_nop 0                                                    // 000000012ABC: BF800000
	v_cndmask_b32_e64 v36, v222, v36, s[98:99]                 // 000000012AC0: D1000024 018A49DE
	v_add_u32_e32 v205, 1, v204                                // 000000012AC8: 699B9881
	v_cmp_lt_u32_e64 s[98:99], v205, v220                      // 000000012ACC: D0C90062 0003B9CD
	s_nop 0                                                    // 000000012AD4: BF800000
	v_cndmask_b32_e64 v37, v222, v37, s[98:99]                 // 000000012AD8: D1000025 018A4BDE
	v_add_u32_e32 v205, 2, v204                                // 000000012AE0: 699B9882
	v_cmp_lt_u32_e64 s[98:99], v205, v220                      // 000000012AE4: D0C90062 0003B9CD
	s_nop 0                                                    // 000000012AEC: BF800000
	v_cndmask_b32_e64 v38, v222, v38, s[98:99]                 // 000000012AF0: D1000026 018A4DDE
	v_add_u32_e32 v205, 3, v204                                // 000000012AF8: 699B9883
	v_cmp_lt_u32_e64 s[98:99], v205, v220                      // 000000012AFC: D0C90062 0003B9CD
	s_nop 0                                                    // 000000012B04: BF800000
	v_cndmask_b32_e64 v39, v222, v39, s[98:99]                 // 000000012B08: D1000027 018A4FDE
	v_add_u32_e32 v205, 64, v204                               // 000000012B10: 699B98C0
	v_cmp_lt_u32_e64 s[98:99], v205, v220                      // 000000012B14: D0C90062 0003B9CD
	s_nop 0                                                    // 000000012B1C: BF800000
	v_cndmask_b32_e64 v40, v222, v40, s[98:99]                 // 000000012B20: D1000028 018A51DE
	v_add_u32_e32 v205, 0x41, v204                             // 000000012B28: 699B98FF 00000041
	v_cmp_lt_u32_e64 s[98:99], v205, v220                      // 000000012B30: D0C90062 0003B9CD
	s_nop 0                                                    // 000000012B38: BF800000
	v_cndmask_b32_e64 v41, v222, v41, s[98:99]                 // 000000012B3C: D1000029 018A53DE
	v_add_u32_e32 v205, 0x42, v204                             // 000000012B44: 699B98FF 00000042
	v_cmp_lt_u32_e64 s[98:99], v205, v220                      // 000000012B4C: D0C90062 0003B9CD
	s_nop 0                                                    // 000000012B54: BF800000
	v_cndmask_b32_e64 v42, v222, v42, s[98:99]                 // 000000012B58: D100002A 018A55DE
	v_add_u32_e32 v205, 0x43, v204                             // 000000012B60: 699B98FF 00000043
	v_cmp_lt_u32_e64 s[98:99], v205, v220                      // 000000012B68: D0C90062 0003B9CD
	s_nop 0                                                    // 000000012B70: BF800000
	v_cndmask_b32_e64 v43, v222, v43, s[98:99]                 // 000000012B74: D100002B 018A57DE
	v_add_u32_e32 v205, 0x80, v204                             // 000000012B7C: 699B98FF 00000080
	v_cmp_lt_u32_e64 s[98:99], v205, v220                      // 000000012B84: D0C90062 0003B9CD
	s_nop 0                                                    // 000000012B8C: BF800000
	v_cndmask_b32_e64 v44, v222, v44, s[98:99]                 // 000000012B90: D100002C 018A59DE
	v_add_u32_e32 v205, 0x81, v204                             // 000000012B98: 699B98FF 00000081
	v_cmp_lt_u32_e64 s[98:99], v205, v220                      // 000000012BA0: D0C90062 0003B9CD
	s_nop 0                                                    // 000000012BA8: BF800000
	v_cndmask_b32_e64 v45, v222, v45, s[98:99]                 // 000000012BAC: D100002D 018A5BDE
	v_add_u32_e32 v205, 0x82, v204                             // 000000012BB4: 699B98FF 00000082
	v_cmp_lt_u32_e64 s[98:99], v205, v220                      // 000000012BBC: D0C90062 0003B9CD
	s_nop 0                                                    // 000000012BC4: BF800000
	v_cndmask_b32_e64 v46, v222, v46, s[98:99]                 // 000000012BC8: D100002E 018A5DDE
	v_add_u32_e32 v205, 0x83, v204                             // 000000012BD0: 699B98FF 00000083
	v_cmp_lt_u32_e64 s[98:99], v205, v220                      // 000000012BD8: D0C90062 0003B9CD
	s_nop 0                                                    // 000000012BE0: BF800000
	v_cndmask_b32_e64 v47, v222, v47, s[98:99]                 // 000000012BE4: D100002F 018A5FDE
	v_add_u32_e32 v205, 0xc0, v204                             // 000000012BEC: 699B98FF 000000C0
	v_cmp_lt_u32_e64 s[98:99], v205, v220                      // 000000012BF4: D0C90062 0003B9CD
	s_nop 0                                                    // 000000012BFC: BF800000
	v_cndmask_b32_e64 v48, v222, v48, s[98:99]                 // 000000012C00: D1000030 018A61DE
	v_add_u32_e32 v205, 0xc1, v204                             // 000000012C08: 699B98FF 000000C1
	v_cmp_lt_u32_e64 s[98:99], v205, v220                      // 000000012C10: D0C90062 0003B9CD
	s_nop 0                                                    // 000000012C18: BF800000
	v_cndmask_b32_e64 v49, v222, v49, s[98:99]                 // 000000012C1C: D1000031 018A63DE
	v_add_u32_e32 v205, 0xc2, v204                             // 000000012C24: 699B98FF 000000C2
	v_cmp_lt_u32_e64 s[98:99], v205, v220                      // 000000012C2C: D0C90062 0003B9CD
	s_nop 0                                                    // 000000012C34: BF800000
	v_cndmask_b32_e64 v50, v222, v50, s[98:99]                 // 000000012C38: D1000032 018A65DE
	v_add_u32_e32 v205, 0xc3, v204                             // 000000012C40: 699B98FF 000000C3
	v_cmp_lt_u32_e64 s[98:99], v205, v220                      // 000000012C48: D0C90062 0003B9CD
	s_nop 0                                                    // 000000012C50: BF800000
	v_cndmask_b32_e64 v51, v222, v51, s[98:99]                 // 000000012C54: D1000033 018A67DE
	v_mov_b32_e32 v182, v4                                     // 000000012C5C: 7F6C0304
	v_max3_f32 v182, v4, v5, v182                              // 000000012C60: D1D300B6 06DA0B04
	v_max3_f32 v182, v6, v7, v182                              // 000000012C68: D1D300B6 06DA0F06
	v_max3_f32 v182, v8, v9, v182                              // 000000012C70: D1D300B6 06DA1308
	v_max3_f32 v182, v10, v11, v182                            // 000000012C78: D1D300B6 06DA170A
	v_max3_f32 v182, v12, v13, v182                            // 000000012C80: D1D300B6 06DA1B0C
	v_max3_f32 v182, v14, v15, v182                            // 000000012C88: D1D300B6 06DA1F0E
	v_max3_f32 v182, v16, v17, v182                            // 000000012C90: D1D300B6 06DA2310
	v_max3_f32 v182, v18, v19, v182                            // 000000012C98: D1D300B6 06DA2712
	v_mov_b32_e32 v183, v20                                    // 000000012CA0: 7F6E0314
	v_max3_f32 v183, v20, v21, v183                            // 000000012CA4: D1D300B7 06DE2B14
	v_max3_f32 v183, v22, v23, v183                            // 000000012CAC: D1D300B7 06DE2F16
	v_max3_f32 v183, v24, v25, v183                            // 000000012CB4: D1D300B7 06DE3318
	v_max3_f32 v183, v26, v27, v183                            // 000000012CBC: D1D300B7 06DE371A
	v_max3_f32 v183, v28, v29, v183                            // 000000012CC4: D1D300B7 06DE3B1C
	v_max3_f32 v183, v30, v31, v183                            // 000000012CCC: D1D300B7 06DE3F1E
	v_max3_f32 v183, v32, v33, v183                            // 000000012CD4: D1D300B7 06DE4320
	v_max3_f32 v183, v34, v35, v183                            // 000000012CDC: D1D300B7 06DE4722
	v_mov_b32_e32 v184, v36                                    // 000000012CE4: 7F700324
	v_max3_f32 v184, v36, v37, v184                            // 000000012CE8: D1D300B8 06E24B24
	v_max3_f32 v184, v38, v39, v184                            // 000000012CF0: D1D300B8 06E24F26
	v_max3_f32 v184, v40, v41, v184                            // 000000012CF8: D1D300B8 06E25328
	v_max3_f32 v184, v42, v43, v184                            // 000000012D00: D1D300B8 06E2572A
	v_max3_f32 v184, v44, v45, v184                            // 000000012D08: D1D300B8 06E25B2C
	v_max3_f32 v184, v46, v47, v184                            // 000000012D10: D1D300B8 06E25F2E
	v_max3_f32 v184, v48, v49, v184                            // 000000012D18: D1D300B8 06E26330
	v_max3_f32 v184, v50, v51, v184                            // 000000012D20: D1D300B8 06E26732
	ds_bpermute_b32 v188, v208, v182                           // 000000012D28: D87E0000 BC00B6D0
	ds_bpermute_b32 v189, v209, v182                           // 000000012D30: D87E0000 BD00B6D1
	ds_bpermute_b32 v190, v210, v182                           // 000000012D38: D87E0000 BE00B6D2
	ds_bpermute_b32 v191, v208, v183                           // 000000012D40: D87E0000 BF00B7D0
	ds_bpermute_b32 v192, v209, v183                           // 000000012D48: D87E0000 C000B7D1
	ds_bpermute_b32 v193, v210, v183                           // 000000012D50: D87E0000 C100B7D2
	ds_bpermute_b32 v194, v208, v184                           // 000000012D58: D87E0000 C200B8D0
	ds_bpermute_b32 v195, v209, v184                           // 000000012D60: D87E0000 C300B8D1
	ds_bpermute_b32 v196, v210, v184                           // 000000012D68: D87E0000 C400B8D2
	v_pk_mul_f32 v[124:125], v[170:171], v[124:125]            // 000000012D70: D3B1407C 1802F9AA
	v_pk_mul_f32 v[126:127], v[170:171], v[126:127]            // 000000012D78: D3B1407E 1802FDAA
	v_pk_mul_f32 v[128:129], v[170:171], v[128:129]            // 000000012D80: D3B14080 180301AA
	v_pk_mul_f32 v[130:131], v[170:171], v[130:131]            // 000000012D88: D3B14082 180305AA
	v_pk_mul_f32 v[132:133], v[172:173], v[132:133]            // 000000012D90: D3B14084 180309AC
	v_pk_mul_f32 v[134:135], v[172:173], v[134:135]            // 000000012D98: D3B14086 18030DAC
	v_pk_mul_f32 v[136:137], v[172:173], v[136:137]            // 000000012DA0: D3B14088 180311AC
	v_pk_mul_f32 v[138:139], v[172:173], v[138:139]            // 000000012DA8: D3B1408A 180315AC
	v_pk_mul_f32 v[140:141], v[174:175], v[140:141]            // 000000012DB0: D3B1408C 180319AE
	v_pk_mul_f32 v[142:143], v[174:175], v[142:143]            // 000000012DB8: D3B1408E 18031DAE
	v_pk_mul_f32 v[144:145], v[174:175], v[144:145]            // 000000012DC0: D3B14090 180321AE
	v_pk_mul_f32 v[146:147], v[174:175], v[146:147]            // 000000012DC8: D3B14092 180325AE
	s_waitcnt lgkmcnt(6)                                       // 000000012DD0: BF8CC67F
	v_max3_f32 v182, v188, v189, v182                          // 000000012DD4: D1D300B6 06DB7BBC
	v_max_f32_e32 v182, v190, v182                             // 000000012DDC: 176D6DBE
	s_waitcnt lgkmcnt(3)                                       // 000000012DE0: BF8CC37F
	v_max3_f32 v183, v191, v192, v183                          // 000000012DE4: D1D300B7 06DF81BF
	v_max_f32_e32 v183, v193, v183                             // 000000012DEC: 176F6FC1
	s_waitcnt lgkmcnt(0)                                       // 000000012DF0: BF8CC07F
	v_max3_f32 v184, v194, v195, v184                          // 000000012DF4: D1D300B8 06E387C2
	v_max_f32_e32 v184, v196, v184                             // 000000012DFC: 177171C4
	ds_write_b128 v249, v[182:185]                             // 000000012E00: D9BE0000 0000B6F9
	s_waitcnt lgkmcnt(0)                                       // 000000012E08: BF8CC07F
	s_barrier                                                  // 000000012E0C: BF8A0000
	ds_read_b128 v[188:191], v250                              // 000000012E10: D9FE0000 BC0000FA
	ds_read_b128 v[192:195], v250 offset:256                   // 000000012E18: D9FE0100 C00000FA
	ds_read_b128 v[196:199], v250 offset:512                   // 000000012E20: D9FE0200 C40000FA
	ds_read_b128 v[200:203], v250 offset:768                   // 000000012E28: D9FE0300 C80000FA
	v_pk_mul_f32 v[100:101], v[158:159], v[100:101]            // 000000012E30: D3B14064 1802C99E
	v_pk_mul_f32 v[102:103], v[158:159], v[102:103]            // 000000012E38: D3B14066 1802CD9E
	v_pk_mul_f32 v[104:105], v[158:159], v[104:105]            // 000000012E40: D3B14068 1802D19E
	v_pk_mul_f32 v[106:107], v[158:159], v[106:107]            // 000000012E48: D3B1406A 1802D59E
	v_pk_mul_f32 v[108:109], v[160:161], v[108:109]            // 000000012E50: D3B1406C 1802D9A0
	v_pk_mul_f32 v[110:111], v[160:161], v[110:111]            // 000000012E58: D3B1406E 1802DDA0
	v_pk_mul_f32 v[112:113], v[160:161], v[112:113]            // 000000012E60: D3B14070 1802E1A0
	v_pk_mul_f32 v[114:115], v[160:161], v[114:115]            // 000000012E68: D3B14072 1802E5A0
	v_pk_mul_f32 v[116:117], v[162:163], v[116:117]            // 000000012E70: D3B14074 1802E9A2
	v_pk_mul_f32 v[118:119], v[162:163], v[118:119]            // 000000012E78: D3B14076 1802EDA2
	v_pk_mul_f32 v[120:121], v[162:163], v[120:121]            // 000000012E80: D3B14078 1802F1A2
	v_pk_mul_f32 v[122:123], v[162:163], v[122:123]            // 000000012E88: D3B1407A 1802F5A2
	s_waitcnt lgkmcnt(0)                                       // 000000012E90: BF8CC07F
	v_max3_f32 v182, v188, v192, v182                          // 000000012E94: D1D300B6 06DB81BC
	v_max3_f32 v183, v189, v193, v183                          // 000000012E9C: D1D300B7 06DF83BD
	v_max3_f32 v184, v190, v194, v184                          // 000000012EA4: D1D300B8 06E385BE
	v_max3_f32 v182, v196, v200, v182                          // 000000012EAC: D1D300B6 06DB91C4
	v_max3_f32 v183, v197, v201, v183                          // 000000012EB4: D1D300B7 06DF93C5
	v_max3_f32 v184, v198, v202, v184                          // 000000012EBC: D1D300B8 06E395C6
	v_max_f32_e32 v167, v182, v164                             // 000000012EC4: 174F49B6
	v_mul_f32_e64 v204, -s46, v167                             // 000000012EC8: D10500CC 20034E2E
	v_mov_b32_e32 v205, v204                                   // 000000012ED0: 7F9A03CC
	v_pk_fma_f32 v[4:5], v[4:5], s[46:47], v[204:205]          // 000000012ED4: D3B04004 1F305D04
	v_pk_fma_f32 v[6:7], v[6:7], s[46:47], v[204:205]          // 000000012EDC: D3B04006 1F305D06
	v_exp_f32_e32 v4, v4                                       // 000000012EE4: 7E084104
	v_exp_f32_e32 v5, v5                                       // 000000012EE8: 7E0A4105
	v_exp_f32_e32 v6, v6                                       // 000000012EEC: 7E0C4106
	v_exp_f32_e32 v7, v7                                       // 000000012EF0: 7E0E4107
	v_pk_fma_f32 v[8:9], v[8:9], s[46:47], v[204:205]          // 000000012EF4: D3B04008 1F305D08
	v_pk_fma_f32 v[10:11], v[10:11], s[46:47], v[204:205]      // 000000012EFC: D3B0400A 1F305D0A
	v_exp_f32_e32 v8, v8                                       // 000000012F04: 7E104108
	v_exp_f32_e32 v9, v9                                       // 000000012F08: 7E124109
	v_exp_f32_e32 v10, v10                                     // 000000012F0C: 7E14410A
	v_exp_f32_e32 v11, v11                                     // 000000012F10: 7E16410B
	v_pk_fma_f32 v[12:13], v[12:13], s[46:47], v[204:205]      // 000000012F14: D3B0400C 1F305D0C
	v_pk_fma_f32 v[14:15], v[14:15], s[46:47], v[204:205]      // 000000012F1C: D3B0400E 1F305D0E
	v_exp_f32_e32 v12, v12                                     // 000000012F24: 7E18410C
	v_exp_f32_e32 v13, v13                                     // 000000012F28: 7E1A410D
	v_exp_f32_e32 v14, v14                                     // 000000012F2C: 7E1C410E
	v_exp_f32_e32 v15, v15                                     // 000000012F30: 7E1E410F
	v_pk_fma_f32 v[16:17], v[16:17], s[46:47], v[204:205]      // 000000012F34: D3B04010 1F305D10
	v_pk_fma_f32 v[18:19], v[18:19], s[46:47], v[204:205]      // 000000012F3C: D3B04012 1F305D12
	v_exp_f32_e32 v16, v16                                     // 000000012F44: 7E204110
	v_exp_f32_e32 v17, v17                                     // 000000012F48: 7E224111
	v_exp_f32_e32 v18, v18                                     // 000000012F4C: 7E244112
	v_exp_f32_e32 v19, v19                                     // 000000012F50: 7E264113
	v_max_f32_e32 v168, v183, v165                             // 000000012F54: 17514BB7
	v_mul_f32_e64 v204, -s46, v168                             // 000000012F58: D10500CC 2003502E
	v_mov_b32_e32 v205, v204                                   // 000000012F60: 7F9A03CC
	v_pk_fma_f32 v[20:21], v[20:21], s[46:47], v[204:205]      // 000000012F64: D3B04014 1F305D14
	v_pk_fma_f32 v[22:23], v[22:23], s[46:47], v[204:205]      // 000000012F6C: D3B04016 1F305D16
	v_exp_f32_e32 v20, v20                                     // 000000012F74: 7E284114
	v_exp_f32_e32 v21, v21                                     // 000000012F78: 7E2A4115
	v_exp_f32_e32 v22, v22                                     // 000000012F7C: 7E2C4116
	v_exp_f32_e32 v23, v23                                     // 000000012F80: 7E2E4117
	v_pk_fma_f32 v[24:25], v[24:25], s[46:47], v[204:205]      // 000000012F84: D3B04018 1F305D18
	v_pk_fma_f32 v[26:27], v[26:27], s[46:47], v[204:205]      // 000000012F8C: D3B0401A 1F305D1A
	v_exp_f32_e32 v24, v24                                     // 000000012F94: 7E304118
	v_exp_f32_e32 v25, v25                                     // 000000012F98: 7E324119
	v_exp_f32_e32 v26, v26                                     // 000000012F9C: 7E34411A
	v_exp_f32_e32 v27, v27                                     // 000000012FA0: 7E36411B
	v_pk_fma_f32 v[28:29], v[28:29], s[46:47], v[204:205]      // 000000012FA4: D3B0401C 1F305D1C
	v_pk_fma_f32 v[30:31], v[30:31], s[46:47], v[204:205]      // 000000012FAC: D3B0401E 1F305D1E
	v_exp_f32_e32 v28, v28                                     // 000000012FB4: 7E38411C
	v_exp_f32_e32 v29, v29                                     // 000000012FB8: 7E3A411D
	v_exp_f32_e32 v30, v30                                     // 000000012FBC: 7E3C411E
	v_exp_f32_e32 v31, v31                                     // 000000012FC0: 7E3E411F
	v_pk_fma_f32 v[32:33], v[32:33], s[46:47], v[204:205]      // 000000012FC4: D3B04020 1F305D20
	v_pk_fma_f32 v[34:35], v[34:35], s[46:47], v[204:205]      // 000000012FCC: D3B04022 1F305D22
	v_exp_f32_e32 v32, v32                                     // 000000012FD4: 7E404120
	v_exp_f32_e32 v33, v33                                     // 000000012FD8: 7E424121
	v_exp_f32_e32 v34, v34                                     // 000000012FDC: 7E444122
	v_exp_f32_e32 v35, v35                                     // 000000012FE0: 7E464123
	v_max_f32_e32 v169, v184, v166                             // 000000012FE4: 17534DB8
	v_mul_f32_e64 v204, -s46, v169                             // 000000012FE8: D10500CC 2003522E
	v_mov_b32_e32 v205, v204                                   // 000000012FF0: 7F9A03CC
	v_pk_fma_f32 v[36:37], v[36:37], s[46:47], v[204:205]      // 000000012FF4: D3B04024 1F305D24
	v_pk_fma_f32 v[38:39], v[38:39], s[46:47], v[204:205]      // 000000012FFC: D3B04026 1F305D26
	v_exp_f32_e32 v36, v36                                     // 000000013004: 7E484124
	v_exp_f32_e32 v37, v37                                     // 000000013008: 7E4A4125
	v_exp_f32_e32 v38, v38                                     // 00000001300C: 7E4C4126
	v_exp_f32_e32 v39, v39                                     // 000000013010: 7E4E4127
	v_pk_fma_f32 v[40:41], v[40:41], s[46:47], v[204:205]      // 000000013014: D3B04028 1F305D28
	v_pk_fma_f32 v[42:43], v[42:43], s[46:47], v[204:205]      // 00000001301C: D3B0402A 1F305D2A
	v_exp_f32_e32 v40, v40                                     // 000000013024: 7E504128
	v_exp_f32_e32 v41, v41                                     // 000000013028: 7E524129
	v_exp_f32_e32 v42, v42                                     // 00000001302C: 7E54412A
	v_exp_f32_e32 v43, v43                                     // 000000013030: 7E56412B
	v_pk_fma_f32 v[44:45], v[44:45], s[46:47], v[204:205]      // 000000013034: D3B0402C 1F305D2C
	v_pk_fma_f32 v[46:47], v[46:47], s[46:47], v[204:205]      // 00000001303C: D3B0402E 1F305D2E
	v_exp_f32_e32 v44, v44                                     // 000000013044: 7E58412C
	v_exp_f32_e32 v45, v45                                     // 000000013048: 7E5A412D
	v_exp_f32_e32 v46, v46                                     // 00000001304C: 7E5C412E
	v_exp_f32_e32 v47, v47                                     // 000000013050: 7E5E412F
	v_pk_fma_f32 v[48:49], v[48:49], s[46:47], v[204:205]      // 000000013054: D3B04030 1F305D30
	v_pk_fma_f32 v[50:51], v[50:51], s[46:47], v[204:205]      // 00000001305C: D3B04032 1F305D32
	v_exp_f32_e32 v48, v48                                     // 000000013064: 7E604130
	v_exp_f32_e32 v49, v49                                     // 000000013068: 7E624131
	v_exp_f32_e32 v50, v50                                     // 00000001306C: 7E644132
	v_exp_f32_e32 v51, v51                                     // 000000013070: 7E664133
	v_mul_f32_dpp v52, v157, v4 row_newbcast:0 row_mask:0xf bank_mask:0xf// 000000013074: 0A6808FA FF01509D
	v_mul_f32_dpp v53, v157, v5 row_newbcast:1 row_mask:0xf bank_mask:0xf// 00000001307C: 0A6A0AFA FF01519D
	v_mul_f32_dpp v54, v157, v6 row_newbcast:2 row_mask:0xf bank_mask:0xf// 000000013084: 0A6C0CFA FF01529D
	v_mul_f32_dpp v55, v157, v7 row_newbcast:3 row_mask:0xf bank_mask:0xf// 00000001308C: 0A6E0EFA FF01539D
	v_mul_f32_dpp v56, v157, v8 row_newbcast:4 row_mask:0xf bank_mask:0xf// 000000013094: 0A7010FA FF01549D
	v_mul_f32_dpp v57, v157, v9 row_newbcast:5 row_mask:0xf bank_mask:0xf// 00000001309C: 0A7212FA FF01559D
	v_mul_f32_dpp v58, v157, v10 row_newbcast:6 row_mask:0xf bank_mask:0xf// 0000000130A4: 0A7414FA FF01569D
	v_mul_f32_dpp v59, v157, v11 row_newbcast:7 row_mask:0xf bank_mask:0xf// 0000000130AC: 0A7616FA FF01579D
	v_mul_f32_dpp v60, v157, v12 row_newbcast:8 row_mask:0xf bank_mask:0xf// 0000000130B4: 0A7818FA FF01589D
	v_mul_f32_dpp v61, v157, v13 row_newbcast:9 row_mask:0xf bank_mask:0xf// 0000000130BC: 0A7A1AFA FF01599D
	v_mul_f32_dpp v62, v157, v14 row_newbcast:10 row_mask:0xf bank_mask:0xf// 0000000130C4: 0A7C1CFA FF015A9D
	v_mul_f32_dpp v63, v157, v15 row_newbcast:11 row_mask:0xf bank_mask:0xf// 0000000130CC: 0A7E1EFA FF015B9D
	v_mul_f32_dpp v64, v157, v16 row_newbcast:12 row_mask:0xf bank_mask:0xf// 0000000130D4: 0A8020FA FF015C9D
	v_mul_f32_dpp v65, v157, v17 row_newbcast:13 row_mask:0xf bank_mask:0xf// 0000000130DC: 0A8222FA FF015D9D
	v_mul_f32_dpp v66, v157, v18 row_newbcast:14 row_mask:0xf bank_mask:0xf// 0000000130E4: 0A8424FA FF015E9D
	v_mul_f32_dpp v67, v157, v19 row_newbcast:15 row_mask:0xf bank_mask:0xf// 0000000130EC: 0A8626FA FF015F9D
	v_mul_f32_dpp v68, v157, v20 row_newbcast:0 row_mask:0xf bank_mask:0xf// 0000000130F4: 0A8828FA FF01509D
	v_mul_f32_dpp v69, v157, v21 row_newbcast:1 row_mask:0xf bank_mask:0xf// 0000000130FC: 0A8A2AFA FF01519D
	v_mul_f32_dpp v70, v157, v22 row_newbcast:2 row_mask:0xf bank_mask:0xf// 000000013104: 0A8C2CFA FF01529D
	v_mul_f32_dpp v71, v157, v23 row_newbcast:3 row_mask:0xf bank_mask:0xf// 00000001310C: 0A8E2EFA FF01539D
	v_mul_f32_dpp v72, v157, v24 row_newbcast:4 row_mask:0xf bank_mask:0xf// 000000013114: 0A9030FA FF01549D
	v_mul_f32_dpp v73, v157, v25 row_newbcast:5 row_mask:0xf bank_mask:0xf// 00000001311C: 0A9232FA FF01559D
	v_mul_f32_dpp v74, v157, v26 row_newbcast:6 row_mask:0xf bank_mask:0xf// 000000013124: 0A9434FA FF01569D
	v_mul_f32_dpp v75, v157, v27 row_newbcast:7 row_mask:0xf bank_mask:0xf// 00000001312C: 0A9636FA FF01579D
	v_mul_f32_dpp v76, v157, v28 row_newbcast:8 row_mask:0xf bank_mask:0xf// 000000013134: 0A9838FA FF01589D
	v_mul_f32_dpp v77, v157, v29 row_newbcast:9 row_mask:0xf bank_mask:0xf// 00000001313C: 0A9A3AFA FF01599D
	v_mul_f32_dpp v78, v157, v30 row_newbcast:10 row_mask:0xf bank_mask:0xf// 000000013144: 0A9C3CFA FF015A9D
	v_mul_f32_dpp v79, v157, v31 row_newbcast:11 row_mask:0xf bank_mask:0xf// 00000001314C: 0A9E3EFA FF015B9D
	v_mul_f32_dpp v80, v157, v32 row_newbcast:12 row_mask:0xf bank_mask:0xf// 000000013154: 0AA040FA FF015C9D
	v_mul_f32_dpp v81, v157, v33 row_newbcast:13 row_mask:0xf bank_mask:0xf// 00000001315C: 0AA242FA FF015D9D
	v_mul_f32_dpp v82, v157, v34 row_newbcast:14 row_mask:0xf bank_mask:0xf// 000000013164: 0AA444FA FF015E9D
	v_mul_f32_dpp v83, v157, v35 row_newbcast:15 row_mask:0xf bank_mask:0xf// 00000001316C: 0AA646FA FF015F9D
	v_mul_f32_dpp v84, v157, v36 row_newbcast:0 row_mask:0xf bank_mask:0xf// 000000013174: 0AA848FA FF01509D
	v_mul_f32_dpp v85, v157, v37 row_newbcast:1 row_mask:0xf bank_mask:0xf// 00000001317C: 0AAA4AFA FF01519D
	v_mul_f32_dpp v86, v157, v38 row_newbcast:2 row_mask:0xf bank_mask:0xf// 000000013184: 0AAC4CFA FF01529D
	v_mul_f32_dpp v87, v157, v39 row_newbcast:3 row_mask:0xf bank_mask:0xf// 00000001318C: 0AAE4EFA FF01539D
	v_mul_f32_dpp v88, v157, v40 row_newbcast:4 row_mask:0xf bank_mask:0xf// 000000013194: 0AB050FA FF01549D
	v_mul_f32_dpp v89, v157, v41 row_newbcast:5 row_mask:0xf bank_mask:0xf// 00000001319C: 0AB252FA FF01559D
	v_mul_f32_dpp v90, v157, v42 row_newbcast:6 row_mask:0xf bank_mask:0xf// 0000000131A4: 0AB454FA FF01569D
	v_mul_f32_dpp v91, v157, v43 row_newbcast:7 row_mask:0xf bank_mask:0xf// 0000000131AC: 0AB656FA FF01579D
	v_mul_f32_dpp v92, v157, v44 row_newbcast:8 row_mask:0xf bank_mask:0xf// 0000000131B4: 0AB858FA FF01589D
	v_mul_f32_dpp v93, v157, v45 row_newbcast:9 row_mask:0xf bank_mask:0xf// 0000000131BC: 0ABA5AFA FF01599D
	v_mul_f32_dpp v94, v157, v46 row_newbcast:10 row_mask:0xf bank_mask:0xf// 0000000131C4: 0ABC5CFA FF015A9D
	v_mul_f32_dpp v95, v157, v47 row_newbcast:11 row_mask:0xf bank_mask:0xf// 0000000131CC: 0ABE5EFA FF015B9D
	v_mul_f32_dpp v96, v157, v48 row_newbcast:12 row_mask:0xf bank_mask:0xf// 0000000131D4: 0AC060FA FF015C9D
	v_mul_f32_dpp v97, v157, v49 row_newbcast:13 row_mask:0xf bank_mask:0xf// 0000000131DC: 0AC262FA FF015D9D
	v_mul_f32_dpp v98, v157, v50 row_newbcast:14 row_mask:0xf bank_mask:0xf// 0000000131E4: 0AC464FA FF015E9D
	v_mul_f32_dpp v99, v157, v51 row_newbcast:15 row_mask:0xf bank_mask:0xf// 0000000131EC: 0AC666FA FF015F9D
	v_add_u32_e32 v204, s64, v221                              // 0000000131F4: 6999BA40
	v_add_u32_e32 v205, 0, v204                                // 0000000131F8: 699B9880
	v_cmp_lt_u32_e32 vcc, v205, v218                           // 0000000131FC: 7D93B5CD
	v_cndmask_b32_e32 v52, 0, v52, vcc                         // 000000013200: 00686880
	v_cmp_lt_u32_e32 vcc, v205, v219                           // 000000013204: 7D93B7CD
	v_cndmask_b32_e32 v68, 0, v68, vcc                         // 000000013208: 00888880
	v_cmp_lt_u32_e32 vcc, v205, v220                           // 00000001320C: 7D93B9CD
	v_cndmask_b32_e32 v84, 0, v84, vcc                         // 000000013210: 00A8A880
	v_add_u32_e32 v205, 1, v204                                // 000000013214: 699B9881
	v_cmp_lt_u32_e32 vcc, v205, v218                           // 000000013218: 7D93B5CD
	v_cndmask_b32_e32 v53, 0, v53, vcc                         // 00000001321C: 006A6A80
	v_cmp_lt_u32_e32 vcc, v205, v219                           // 000000013220: 7D93B7CD
	v_cndmask_b32_e32 v69, 0, v69, vcc                         // 000000013224: 008A8A80
	v_cmp_lt_u32_e32 vcc, v205, v220                           // 000000013228: 7D93B9CD
	v_cndmask_b32_e32 v85, 0, v85, vcc                         // 00000001322C: 00AAAA80
	v_add_u32_e32 v205, 2, v204                                // 000000013230: 699B9882
	v_cmp_lt_u32_e32 vcc, v205, v218                           // 000000013234: 7D93B5CD
	v_cndmask_b32_e32 v54, 0, v54, vcc                         // 000000013238: 006C6C80
	v_cmp_lt_u32_e32 vcc, v205, v219                           // 00000001323C: 7D93B7CD
	v_cndmask_b32_e32 v70, 0, v70, vcc                         // 000000013240: 008C8C80
	v_cmp_lt_u32_e32 vcc, v205, v220                           // 000000013244: 7D93B9CD
	v_cndmask_b32_e32 v86, 0, v86, vcc                         // 000000013248: 00ACAC80
	v_add_u32_e32 v205, 3, v204                                // 00000001324C: 699B9883
	v_cmp_lt_u32_e32 vcc, v205, v218                           // 000000013250: 7D93B5CD
	v_cndmask_b32_e32 v55, 0, v55, vcc                         // 000000013254: 006E6E80
	v_cmp_lt_u32_e32 vcc, v205, v219                           // 000000013258: 7D93B7CD
	v_cndmask_b32_e32 v71, 0, v71, vcc                         // 00000001325C: 008E8E80
	v_cmp_lt_u32_e32 vcc, v205, v220                           // 000000013260: 7D93B9CD
	v_cndmask_b32_e32 v87, 0, v87, vcc                         // 000000013264: 00AEAE80
	v_add_u32_e32 v205, 64, v204                               // 000000013268: 699B98C0
	v_cmp_lt_u32_e32 vcc, v205, v218                           // 00000001326C: 7D93B5CD
	v_cndmask_b32_e32 v56, 0, v56, vcc                         // 000000013270: 00707080
	v_cmp_lt_u32_e32 vcc, v205, v219                           // 000000013274: 7D93B7CD
	v_cndmask_b32_e32 v72, 0, v72, vcc                         // 000000013278: 00909080
	v_cmp_lt_u32_e32 vcc, v205, v220                           // 00000001327C: 7D93B9CD
	v_cndmask_b32_e32 v88, 0, v88, vcc                         // 000000013280: 00B0B080
	v_add_u32_e32 v205, 0x41, v204                             // 000000013284: 699B98FF 00000041
	v_cmp_lt_u32_e32 vcc, v205, v218                           // 00000001328C: 7D93B5CD
	v_cndmask_b32_e32 v57, 0, v57, vcc                         // 000000013290: 00727280
	v_cmp_lt_u32_e32 vcc, v205, v219                           // 000000013294: 7D93B7CD
	v_cndmask_b32_e32 v73, 0, v73, vcc                         // 000000013298: 00929280
	v_cmp_lt_u32_e32 vcc, v205, v220                           // 00000001329C: 7D93B9CD
	v_cndmask_b32_e32 v89, 0, v89, vcc                         // 0000000132A0: 00B2B280
	v_add_u32_e32 v205, 0x42, v204                             // 0000000132A4: 699B98FF 00000042
	v_cmp_lt_u32_e32 vcc, v205, v218                           // 0000000132AC: 7D93B5CD
	v_cndmask_b32_e32 v58, 0, v58, vcc                         // 0000000132B0: 00747480
	v_cmp_lt_u32_e32 vcc, v205, v219                           // 0000000132B4: 7D93B7CD
	v_cndmask_b32_e32 v74, 0, v74, vcc                         // 0000000132B8: 00949480
	v_cmp_lt_u32_e32 vcc, v205, v220                           // 0000000132BC: 7D93B9CD
	v_cndmask_b32_e32 v90, 0, v90, vcc                         // 0000000132C0: 00B4B480
	v_add_u32_e32 v205, 0x43, v204                             // 0000000132C4: 699B98FF 00000043
	v_cmp_lt_u32_e32 vcc, v205, v218                           // 0000000132CC: 7D93B5CD
	v_cndmask_b32_e32 v59, 0, v59, vcc                         // 0000000132D0: 00767680
	v_cmp_lt_u32_e32 vcc, v205, v219                           // 0000000132D4: 7D93B7CD
	v_cndmask_b32_e32 v75, 0, v75, vcc                         // 0000000132D8: 00969680
	v_cmp_lt_u32_e32 vcc, v205, v220                           // 0000000132DC: 7D93B9CD
	v_cndmask_b32_e32 v91, 0, v91, vcc                         // 0000000132E0: 00B6B680
	v_add_u32_e32 v205, 0x80, v204                             // 0000000132E4: 699B98FF 00000080
	v_cmp_lt_u32_e32 vcc, v205, v218                           // 0000000132EC: 7D93B5CD
	v_cndmask_b32_e32 v60, 0, v60, vcc                         // 0000000132F0: 00787880
	v_cmp_lt_u32_e32 vcc, v205, v219                           // 0000000132F4: 7D93B7CD
	v_cndmask_b32_e32 v76, 0, v76, vcc                         // 0000000132F8: 00989880
	v_cmp_lt_u32_e32 vcc, v205, v220                           // 0000000132FC: 7D93B9CD
	v_cndmask_b32_e32 v92, 0, v92, vcc                         // 000000013300: 00B8B880
	v_add_u32_e32 v205, 0x81, v204                             // 000000013304: 699B98FF 00000081
	v_cmp_lt_u32_e32 vcc, v205, v218                           // 00000001330C: 7D93B5CD
	v_cndmask_b32_e32 v61, 0, v61, vcc                         // 000000013310: 007A7A80
	v_cmp_lt_u32_e32 vcc, v205, v219                           // 000000013314: 7D93B7CD
	v_cndmask_b32_e32 v77, 0, v77, vcc                         // 000000013318: 009A9A80
	v_cmp_lt_u32_e32 vcc, v205, v220                           // 00000001331C: 7D93B9CD
	v_cndmask_b32_e32 v93, 0, v93, vcc                         // 000000013320: 00BABA80
	v_add_u32_e32 v205, 0x82, v204                             // 000000013324: 699B98FF 00000082
	v_cmp_lt_u32_e32 vcc, v205, v218                           // 00000001332C: 7D93B5CD
	v_cndmask_b32_e32 v62, 0, v62, vcc                         // 000000013330: 007C7C80
	v_cmp_lt_u32_e32 vcc, v205, v219                           // 000000013334: 7D93B7CD
	v_cndmask_b32_e32 v78, 0, v78, vcc                         // 000000013338: 009C9C80
	v_cmp_lt_u32_e32 vcc, v205, v220                           // 00000001333C: 7D93B9CD
	v_cndmask_b32_e32 v94, 0, v94, vcc                         // 000000013340: 00BCBC80
	v_add_u32_e32 v205, 0x83, v204                             // 000000013344: 699B98FF 00000083
	v_cmp_lt_u32_e32 vcc, v205, v218                           // 00000001334C: 7D93B5CD
	v_cndmask_b32_e32 v63, 0, v63, vcc                         // 000000013350: 007E7E80
	v_cmp_lt_u32_e32 vcc, v205, v219                           // 000000013354: 7D93B7CD
	v_cndmask_b32_e32 v79, 0, v79, vcc                         // 000000013358: 009E9E80
	v_cmp_lt_u32_e32 vcc, v205, v220                           // 00000001335C: 7D93B9CD
	v_cndmask_b32_e32 v95, 0, v95, vcc                         // 000000013360: 00BEBE80
	v_add_u32_e32 v205, 0xc0, v204                             // 000000013364: 699B98FF 000000C0
	v_cmp_lt_u32_e32 vcc, v205, v218                           // 00000001336C: 7D93B5CD
	v_cndmask_b32_e32 v64, 0, v64, vcc                         // 000000013370: 00808080
	v_cmp_lt_u32_e32 vcc, v205, v219                           // 000000013374: 7D93B7CD
	v_cndmask_b32_e32 v80, 0, v80, vcc                         // 000000013378: 00A0A080
	v_cmp_lt_u32_e32 vcc, v205, v220                           // 00000001337C: 7D93B9CD
	v_cndmask_b32_e32 v96, 0, v96, vcc                         // 000000013380: 00C0C080
	v_add_u32_e32 v205, 0xc1, v204                             // 000000013384: 699B98FF 000000C1
	v_cmp_lt_u32_e32 vcc, v205, v218                           // 00000001338C: 7D93B5CD
	v_cndmask_b32_e32 v65, 0, v65, vcc                         // 000000013390: 00828280
	v_cmp_lt_u32_e32 vcc, v205, v219                           // 000000013394: 7D93B7CD
	v_cndmask_b32_e32 v81, 0, v81, vcc                         // 000000013398: 00A2A280
	v_cmp_lt_u32_e32 vcc, v205, v220                           // 00000001339C: 7D93B9CD
	v_cndmask_b32_e32 v97, 0, v97, vcc                         // 0000000133A0: 00C2C280
	v_add_u32_e32 v205, 0xc2, v204                             // 0000000133A4: 699B98FF 000000C2
	v_cmp_lt_u32_e32 vcc, v205, v218                           // 0000000133AC: 7D93B5CD
	v_cndmask_b32_e32 v66, 0, v66, vcc                         // 0000000133B0: 00848480
	v_cmp_lt_u32_e32 vcc, v205, v219                           // 0000000133B4: 7D93B7CD
	v_cndmask_b32_e32 v82, 0, v82, vcc                         // 0000000133B8: 00A4A480
	v_cmp_lt_u32_e32 vcc, v205, v220                           // 0000000133BC: 7D93B9CD
	v_cndmask_b32_e32 v98, 0, v98, vcc                         // 0000000133C0: 00C4C480
	v_add_u32_e32 v205, 0xc3, v204                             // 0000000133C4: 699B98FF 000000C3
	v_cmp_lt_u32_e32 vcc, v205, v218                           // 0000000133CC: 7D93B5CD
	v_cndmask_b32_e32 v67, 0, v67, vcc                         // 0000000133D0: 00868680
	v_cmp_lt_u32_e32 vcc, v205, v219                           // 0000000133D4: 7D93B7CD
	v_cndmask_b32_e32 v83, 0, v83, vcc                         // 0000000133D8: 00A6A680
	v_cmp_lt_u32_e32 vcc, v205, v220                           // 0000000133DC: 7D93B9CD
	v_cndmask_b32_e32 v99, 0, v99, vcc                         // 0000000133E0: 00C6C680
	v_mov_b32_e32 v182, 0x358637bd                             // 0000000133E4: 7F6C02FF 358637BD
	v_max3_f32 v182, |v52|, |v53|, v182                        // 0000000133EC: D1D303B6 06DA6B34
	v_max3_f32 v182, |v54|, |v55|, v182                        // 0000000133F4: D1D303B6 06DA6F36
	v_max3_f32 v182, |v56|, |v57|, v182                        // 0000000133FC: D1D303B6 06DA7338
	v_max3_f32 v182, |v58|, |v59|, v182                        // 000000013404: D1D303B6 06DA773A
	v_max3_f32 v182, |v60|, |v61|, v182                        // 00000001340C: D1D303B6 06DA7B3C
	v_max3_f32 v182, |v62|, |v63|, v182                        // 000000013414: D1D303B6 06DA7F3E
	v_max3_f32 v182, |v64|, |v65|, v182                        // 00000001341C: D1D303B6 06DA8340
	v_max3_f32 v182, |v66|, |v67|, v182                        // 000000013424: D1D303B6 06DA8742
	v_mov_b32_e32 v183, 0x358637bd                             // 00000001342C: 7F6E02FF 358637BD
	v_max3_f32 v183, |v68|, |v69|, v183                        // 000000013434: D1D303B7 06DE8B44
	v_max3_f32 v183, |v70|, |v71|, v183                        // 00000001343C: D1D303B7 06DE8F46
	v_max3_f32 v183, |v72|, |v73|, v183                        // 000000013444: D1D303B7 06DE9348
	v_max3_f32 v183, |v74|, |v75|, v183                        // 00000001344C: D1D303B7 06DE974A
	v_max3_f32 v183, |v76|, |v77|, v183                        // 000000013454: D1D303B7 06DE9B4C
	v_max3_f32 v183, |v78|, |v79|, v183                        // 00000001345C: D1D303B7 06DE9F4E
	v_max3_f32 v183, |v80|, |v81|, v183                        // 000000013464: D1D303B7 06DEA350
	v_max3_f32 v183, |v82|, |v83|, v183                        // 00000001346C: D1D303B7 06DEA752
	v_mov_b32_e32 v184, 0x358637bd                             // 000000013474: 7F7002FF 358637BD
	v_max3_f32 v184, |v84|, |v85|, v184                        // 00000001347C: D1D303B8 06E2AB54
	v_max3_f32 v184, |v86|, |v87|, v184                        // 000000013484: D1D303B8 06E2AF56
	v_max3_f32 v184, |v88|, |v89|, v184                        // 00000001348C: D1D303B8 06E2B358
	v_max3_f32 v184, |v90|, |v91|, v184                        // 000000013494: D1D303B8 06E2B75A
	v_max3_f32 v184, |v92|, |v93|, v184                        // 00000001349C: D1D303B8 06E2BB5C
	v_max3_f32 v184, |v94|, |v95|, v184                        // 0000000134A4: D1D303B8 06E2BF5E
	v_max3_f32 v184, |v96|, |v97|, v184                        // 0000000134AC: D1D303B8 06E2C360
	v_max3_f32 v184, |v98|, |v99|, v184                        // 0000000134B4: D1D303B8 06E2C762
	ds_bpermute_b32 v188, v208, v182                           // 0000000134BC: D87E0000 BC00B6D0
	ds_bpermute_b32 v189, v209, v182                           // 0000000134C4: D87E0000 BD00B6D1
	ds_bpermute_b32 v190, v210, v182                           // 0000000134CC: D87E0000 BE00B6D2
	ds_bpermute_b32 v191, v208, v183                           // 0000000134D4: D87E0000 BF00B7D0
	ds_bpermute_b32 v192, v209, v183                           // 0000000134DC: D87E0000 C000B7D1
	ds_bpermute_b32 v193, v210, v183                           // 0000000134E4: D87E0000 C100B7D2
	ds_bpermute_b32 v194, v208, v184                           // 0000000134EC: D87E0000 C200B8D0
	ds_bpermute_b32 v195, v209, v184                           // 0000000134F4: D87E0000 C300B8D1
	ds_bpermute_b32 v196, v210, v184                           // 0000000134FC: D87E0000 C400B8D2
	s_waitcnt lgkmcnt(6)                                       // 000000013504: BF8CC67F
	v_max3_f32 v182, v188, v189, v182                          // 000000013508: D1D300B6 06DB7BBC
	v_max_f32_e32 v182, v190, v182                             // 000000013510: 176D6DBE
	s_waitcnt lgkmcnt(3)                                       // 000000013514: BF8CC37F
	v_max3_f32 v183, v191, v192, v183                          // 000000013518: D1D300B7 06DF81BF
	v_max_f32_e32 v183, v193, v183                             // 000000013520: 176F6FC1
	s_waitcnt lgkmcnt(0)                                       // 000000013524: BF8CC07F
	v_max3_f32 v184, v194, v195, v184                          // 000000013528: D1D300B8 06E387C2
	v_max_f32_e32 v184, v196, v184                             // 000000013530: 177171C4
	ds_write_b128 v249, v[182:185] offset:4096                 // 000000013534: D9BE1000 0000B6F9
	buffer_load_dword v154, v235, s[20:23], 0 offen            // 00000001353C: E0501000 80059AEB
	v_sub_f32_e32 v170, v164, v167                             // 000000013544: 05554FA4
	v_cmp_eq_u32_e64 s[98:99], v222, v164                      // 000000013548: D0CA0062 000349DE
	v_cndmask_b32_e64 v170, v170, 0, s[98:99]                  // 000000013550: D10000AA 018901AA
	v_mov_b32_e32 v164, v167                                   // 000000013558: 7F4803A7
	v_mul_f32_e32 v170, s46, v170                              // 00000001355C: 0B55542E
	v_exp_f32_e32 v170, v170                                   // 000000013560: 7F5441AA
	v_sub_f32_e32 v172, v165, v168                             // 000000013564: 055951A5
	v_cmp_eq_u32_e64 s[98:99], v222, v165                      // 000000013568: D0CA0062 00034BDE
	v_cndmask_b32_e64 v172, v172, 0, s[98:99]                  // 000000013570: D10000AC 018901AC
	v_mov_b32_e32 v165, v168                                   // 000000013578: 7F4A03A8
	v_mul_f32_e32 v172, s46, v172                              // 00000001357C: 0B59582E
	v_exp_f32_e32 v172, v172                                   // 000000013580: 7F5841AC
	v_sub_f32_e32 v174, v166, v169                             // 000000013584: 055D53A6
	v_cmp_eq_u32_e64 s[98:99], v222, v166                      // 000000013588: D0CA0062 00034DDE
	v_cndmask_b32_e64 v174, v174, 0, s[98:99]                  // 000000013590: D10000AE 018901AE
	v_mov_b32_e32 v166, v169                                   // 000000013598: 7F4C03A9
	v_mul_f32_e32 v174, s46, v174                              // 00000001359C: 0B5D5C2E
	v_exp_f32_e32 v174, v174                                   // 0000000135A0: 7F5C41AE
	v_mov_b32_e32 v171, v170                                   // 0000000135A4: 7F5603AA
	v_mov_b32_e32 v173, v172                                   // 0000000135A8: 7F5A03AC
	v_mov_b32_e32 v175, v174                                   // 0000000135AC: 7F5E03AE
	s_waitcnt lgkmcnt(0)                                       // 0000000135B0: BF8CC07F
	s_barrier                                                  // 0000000135B4: BF8A0000
	ds_read_b128 v[188:191], v250 offset:4096                  // 0000000135B8: D9FE1000 BC0000FA
	ds_read_b128 v[192:195], v250 offset:4352                  // 0000000135C0: D9FE1100 C00000FA
	ds_read_b128 v[196:199], v250 offset:4608                  // 0000000135C8: D9FE1200 C40000FA
	ds_read_b128 v[200:203], v250 offset:4864                  // 0000000135D0: D9FE1300 C80000FA
	buffer_load_dword v156, v236, s[24:27], 0 offen            // 0000000135D8: E0501000 80069CEC
	v_mul_f32_e32 v176, v170, v176                             // 0000000135E0: 0B6161AA
	v_mov_b32_e32 v177, 0                                      // 0000000135E4: 7F620280
	v_pk_add_f32 v[176:177], v[4:5], v[176:177]                // 0000000135E8: D3B240B0 18036104
	v_pk_add_f32 v[176:177], v[6:7], v[176:177]                // 0000000135F0: D3B240B0 18036106
	v_pk_add_f32 v[176:177], v[8:9], v[176:177]                // 0000000135F8: D3B240B0 18036108
	v_pk_add_f32 v[176:177], v[10:11], v[176:177]              // 000000013600: D3B240B0 1803610A
	v_pk_add_f32 v[176:177], v[12:13], v[176:177]              // 000000013608: D3B240B0 1803610C
	v_pk_add_f32 v[176:177], v[14:15], v[176:177]              // 000000013610: D3B240B0 1803610E
	v_pk_add_f32 v[176:177], v[16:17], v[176:177]              // 000000013618: D3B240B0 18036110
	v_pk_add_f32 v[176:177], v[18:19], v[176:177]              // 000000013620: D3B240B0 18036112
	v_add_f32_e32 v176, v177, v176                             // 000000013628: 036161B1
	v_mul_f32_e32 v178, v172, v178                             // 00000001362C: 0B6565AC
	v_mov_b32_e32 v179, 0                                      // 000000013630: 7F660280
	v_pk_add_f32 v[178:179], v[20:21], v[178:179]              // 000000013634: D3B240B2 18036514
	v_pk_add_f32 v[178:179], v[22:23], v[178:179]              // 00000001363C: D3B240B2 18036516
	v_pk_add_f32 v[178:179], v[24:25], v[178:179]              // 000000013644: D3B240B2 18036518
	v_pk_add_f32 v[178:179], v[26:27], v[178:179]              // 00000001364C: D3B240B2 1803651A
	v_pk_add_f32 v[178:179], v[28:29], v[178:179]              // 000000013654: D3B240B2 1803651C
	v_pk_add_f32 v[178:179], v[30:31], v[178:179]              // 00000001365C: D3B240B2 1803651E
	v_pk_add_f32 v[178:179], v[32:33], v[178:179]              // 000000013664: D3B240B2 18036520
	v_pk_add_f32 v[178:179], v[34:35], v[178:179]              // 00000001366C: D3B240B2 18036522
	v_add_f32_e32 v178, v179, v178                             // 000000013674: 036565B3
	v_mul_f32_e32 v180, v174, v180                             // 000000013678: 0B6969AE
	v_mov_b32_e32 v181, 0                                      // 00000001367C: 7F6A0280
	v_pk_add_f32 v[180:181], v[36:37], v[180:181]              // 000000013680: D3B240B4 18036924
	v_pk_add_f32 v[180:181], v[38:39], v[180:181]              // 000000013688: D3B240B4 18036926
	;; [unrolled: 1-line block ×3, first 2 shown]
	v_pk_add_f32 v[180:181], v[42:43], v[180:181]              // 000000013698: D3B240B4 1803692A
	v_pk_add_f32 v[180:181], v[44:45], v[180:181]              // 0000000136A0: D3B240B4 1803692C
	v_pk_add_f32 v[180:181], v[46:47], v[180:181]              // 0000000136A8: D3B240B4 1803692E
	v_pk_add_f32 v[180:181], v[48:49], v[180:181]              // 0000000136B0: D3B240B4 18036930
	v_pk_add_f32 v[180:181], v[50:51], v[180:181]              // 0000000136B8: D3B240B4 18036932
	v_add_f32_e32 v180, v181, v180                             // 0000000136C0: 036969B5
	s_waitcnt lgkmcnt(0)                                       // 0000000136C4: BF8CC07F
	v_max3_f32 v182, v188, v192, v182                          // 0000000136C8: D1D300B6 06DB81BC
	v_max3_f32 v183, v189, v193, v183                          // 0000000136D0: D1D300B7 06DF83BD
	v_max3_f32 v184, v190, v194, v184                          // 0000000136D8: D1D300B8 06E385BE
	v_max3_f32 v182, v196, v200, v182                          // 0000000136E0: D1D300B6 06DB91C4
	v_max3_f32 v183, v197, v201, v183                          // 0000000136E8: D1D300B7 06DF93C5
	v_max3_f32 v184, v198, v202, v184                          // 0000000136F0: D1D300B8 06E395C6
	v_rcp_f32_e32 v182, v182                                   // 0000000136F8: 7F6C45B6
	v_rcp_f32_e32 v183, v183                                   // 0000000136FC: 7F6E45B7
	v_rcp_f32_e32 v184, v184                                   // 000000013700: 7F7045B8
	v_mul_f32_e32 v182, 0x43700000, v182                       // 000000013704: 0B6D6CFF 43700000
	v_mul_f32_e32 v183, 0x43700000, v183                       // 00000001370C: 0B6F6EFF 43700000
	v_mul_f32_e32 v184, 0x43700000, v184                       // 000000013714: 0B7170FF 43700000
	v_mov_b32_e32 v186, v184                                   // 00000001371C: 7F7403B8
	v_mov_b32_e32 v187, v184                                   // 000000013720: 7F7603B8
	v_mov_b32_e32 v184, v183                                   // 000000013724: 7F7003B7
	v_mov_b32_e32 v185, v183                                   // 000000013728: 7F7203B7
	v_mov_b32_e32 v183, v182                                   // 00000001372C: 7F6E03B6
	v_pk_mul_f32 v[4:5], v[182:183], v[52:53]                  // 000000013730: D3B14004 180269B6
	v_pk_mul_f32 v[6:7], v[182:183], v[54:55]                  // 000000013738: D3B14006 18026DB6
	v_pk_mul_f32 v[8:9], v[182:183], v[56:57]                  // 000000013740: D3B14008 180271B6
	v_pk_mul_f32 v[10:11], v[182:183], v[58:59]                // 000000013748: D3B1400A 180275B6
	v_pk_mul_f32 v[12:13], v[182:183], v[60:61]                // 000000013750: D3B1400C 180279B6
	v_pk_mul_f32 v[14:15], v[182:183], v[62:63]                // 000000013758: D3B1400E 18027DB6
	v_pk_mul_f32 v[16:17], v[182:183], v[64:65]                // 000000013760: D3B14010 180281B6
	v_pk_mul_f32 v[18:19], v[182:183], v[66:67]                // 000000013768: D3B14012 180285B6
	v_pk_mul_f32 v[20:21], v[184:185], v[68:69]                // 000000013770: D3B14014 180289B8
	v_pk_mul_f32 v[22:23], v[184:185], v[70:71]                // 000000013778: D3B14016 18028DB8
	v_pk_mul_f32 v[24:25], v[184:185], v[72:73]                // 000000013780: D3B14018 180291B8
	v_pk_mul_f32 v[26:27], v[184:185], v[74:75]                // 000000013788: D3B1401A 180295B8
	v_pk_mul_f32 v[28:29], v[184:185], v[76:77]                // 000000013790: D3B1401C 180299B8
	v_pk_mul_f32 v[30:31], v[184:185], v[78:79]                // 000000013798: D3B1401E 18029DB8
	v_pk_mul_f32 v[32:33], v[184:185], v[80:81]                // 0000000137A0: D3B14020 1802A1B8
	v_pk_mul_f32 v[34:35], v[184:185], v[82:83]                // 0000000137A8: D3B14022 1802A5B8
	v_pk_mul_f32 v[36:37], v[186:187], v[84:85]                // 0000000137B0: D3B14024 1802A9BA
	v_pk_mul_f32 v[38:39], v[186:187], v[86:87]                // 0000000137B8: D3B14026 1802ADBA
	v_pk_mul_f32 v[40:41], v[186:187], v[88:89]                // 0000000137C0: D3B14028 1802B1BA
	v_pk_mul_f32 v[42:43], v[186:187], v[90:91]                // 0000000137C8: D3B1402A 1802B5BA
	v_pk_mul_f32 v[44:45], v[186:187], v[92:93]                // 0000000137D0: D3B1402C 1802B9BA
	v_pk_mul_f32 v[46:47], v[186:187], v[94:95]                // 0000000137D8: D3B1402E 1802BDBA
	v_pk_mul_f32 v[48:49], v[186:187], v[96:97]                // 0000000137E0: D3B14030 1802C1BA
	v_pk_mul_f32 v[50:51], v[186:187], v[98:99]                // 0000000137E8: D3B14032 1802C5BA
	v_cvt_pk_fp8_f32 v4, v4, v5                                // 0000000137F0: D2A20004 00020B04
	v_cvt_pk_fp8_f32 v4, v6, v7 op_sel:[0,0,1]                 // 0000000137F8: D2A24004 00020F06
	v_cvt_pk_fp8_f32 v5, v8, v9                                // 000000013800: D2A20005 00021308
	v_cvt_pk_fp8_f32 v5, v10, v11 op_sel:[0,0,1]               // 000000013808: D2A24005 0002170A
	v_cvt_pk_fp8_f32 v6, v12, v13                              // 000000013810: D2A20006 00021B0C
	v_cvt_pk_fp8_f32 v6, v14, v15 op_sel:[0,0,1]               // 000000013818: D2A24006 00021F0E
	v_cvt_pk_fp8_f32 v7, v16, v17                              // 000000013820: D2A20007 00022310
	v_cvt_pk_fp8_f32 v7, v18, v19 op_sel:[0,0,1]               // 000000013828: D2A24007 00022712
	v_cvt_pk_fp8_f32 v8, v20, v21                              // 000000013830: D2A20008 00022B14
	v_cvt_pk_fp8_f32 v8, v22, v23 op_sel:[0,0,1]               // 000000013838: D2A24008 00022F16
	v_cvt_pk_fp8_f32 v9, v24, v25                              // 000000013840: D2A20009 00023318
	v_cvt_pk_fp8_f32 v9, v26, v27 op_sel:[0,0,1]               // 000000013848: D2A24009 0002371A
	v_cvt_pk_fp8_f32 v10, v28, v29                             // 000000013850: D2A2000A 00023B1C
	v_cvt_pk_fp8_f32 v10, v30, v31 op_sel:[0,0,1]              // 000000013858: D2A2400A 00023F1E
	v_cvt_pk_fp8_f32 v11, v32, v33                             // 000000013860: D2A2000B 00024320
	v_cvt_pk_fp8_f32 v11, v34, v35 op_sel:[0,0,1]              // 000000013868: D2A2400B 00024722
	v_cvt_pk_fp8_f32 v12, v36, v37                             // 000000013870: D2A2000C 00024B24
	v_cvt_pk_fp8_f32 v12, v38, v39 op_sel:[0,0,1]              // 000000013878: D2A2400C 00024F26
	v_cvt_pk_fp8_f32 v13, v40, v41                             // 000000013880: D2A2000D 00025328
	v_cvt_pk_fp8_f32 v13, v42, v43 op_sel:[0,0,1]              // 000000013888: D2A2400D 0002572A
	v_cvt_pk_fp8_f32 v14, v44, v45                             // 000000013890: D2A2000E 00025B2C
	v_cvt_pk_fp8_f32 v14, v46, v47 op_sel:[0,0,1]              // 000000013898: D2A2400E 00025F2E
	v_cvt_pk_fp8_f32 v15, v48, v49                             // 0000000138A0: D2A2000F 00026330
	v_cvt_pk_fp8_f32 v15, v50, v51 op_sel:[0,0,1]              // 0000000138A8: D2A2400F 00026732
	ds_write_b32 v251, v4 offset:8192                          // 0000000138B0: D81A2000 000004FB
	ds_write_b32 v251, v5 offset:9216                          // 0000000138B8: D81A2400 000005FB
	ds_write_b32 v251, v6 offset:10240                         // 0000000138C0: D81A2800 000006FB
	ds_write_b32 v251, v7 offset:11264                         // 0000000138C8: D81A2C00 000007FB
	ds_write_b32 v251, v8 offset:12288                         // 0000000138D0: D81A3000 000008FB
	ds_write_b32 v251, v9 offset:13312                         // 0000000138D8: D81A3400 000009FB
	ds_write_b32 v251, v10 offset:14336                        // 0000000138E0: D81A3800 00000AFB
	ds_write_b32 v251, v11 offset:15360                        // 0000000138E8: D81A3C00 00000BFB
	ds_write_b32 v251, v12 offset:16384                        // 0000000138F0: D81A4000 00000CFB
	ds_write_b32 v251, v13 offset:17408                        // 0000000138F8: D81A4400 00000DFB
	ds_write_b32 v251, v14 offset:18432                        // 000000013900: D81A4800 00000EFB
	ds_write_b32 v251, v15 offset:19456                        // 000000013908: D81A4C00 00000FFB
	v_rcp_f32_e32 v158, v182                                   // 000000013910: 7F3C45B6
	v_rcp_f32_e32 v160, v184                                   // 000000013914: 7F4045B8
	v_rcp_f32_e32 v162, v186                                   // 000000013918: 7F4445BA
	v_mov_b32_e32 v159, v158                                   // 00000001391C: 7F3E039E
	v_mov_b32_e32 v161, v160                                   // 000000013920: 7F4203A0
	v_mov_b32_e32 v163, v162                                   // 000000013924: 7F4603A2
	v_pk_add_f32 v[124:125], v[124:125], v[100:101]            // 000000013928: D3B2407C 1802C97C
	v_pk_add_f32 v[126:127], v[126:127], v[102:103]            // 000000013930: D3B2407E 1802CD7E
	v_pk_add_f32 v[128:129], v[128:129], v[104:105]            // 000000013938: D3B24080 1802D180
	v_pk_add_f32 v[130:131], v[130:131], v[106:107]            // 000000013940: D3B24082 1802D582
	v_pk_add_f32 v[132:133], v[132:133], v[108:109]            // 000000013948: D3B24084 1802D984
	v_pk_add_f32 v[134:135], v[134:135], v[110:111]            // 000000013950: D3B24086 1802DD86
	v_pk_add_f32 v[136:137], v[136:137], v[112:113]            // 000000013958: D3B24088 1802E188
	v_pk_add_f32 v[138:139], v[138:139], v[114:115]            // 000000013960: D3B2408A 1802E58A
	v_pk_add_f32 v[140:141], v[140:141], v[116:117]            // 000000013968: D3B2408C 1802E98C
	v_pk_add_f32 v[142:143], v[142:143], v[118:119]            // 000000013970: D3B2408E 1802ED8E
	v_pk_add_f32 v[144:145], v[144:145], v[120:121]            // 000000013978: D3B24090 1802F190
	v_pk_add_f32 v[146:147], v[146:147], v[122:123]            // 000000013980: D3B24092 1802F592
	s_waitcnt lgkmcnt(0)                                       // 000000013988: BF8CC07F
	s_barrier                                                  // 00000001398C: BF8A0000
	ds_read_b128 v[4:7], v252 offset:8192                      // 000000013990: D9FE2000 040000FC
	ds_read_b128 v[8:11], v252 offset:9216                     // 000000013998: D9FE2400 080000FC
	ds_read_b128 v[12:15], v252 offset:10240                   // 0000000139A0: D9FE2800 0C0000FC
	ds_read_b128 v[16:19], v252 offset:11264                   // 0000000139A8: D9FE2C00 100000FC
	ds_read_b128 v[20:23], v252 offset:12288                   // 0000000139B0: D9FE3000 140000FC
	ds_read_b128 v[24:27], v252 offset:13312                   // 0000000139B8: D9FE3400 180000FC
	ds_read_b128 v[28:31], v252 offset:14336                   // 0000000139C0: D9FE3800 1C0000FC
	ds_read_b128 v[32:35], v252 offset:15360                   // 0000000139C8: D9FE3C00 200000FC
	ds_read_b128 v[36:39], v252 offset:16384                   // 0000000139D0: D9FE4000 240000FC
	ds_read_b128 v[40:43], v252 offset:17408                   // 0000000139D8: D9FE4400 280000FC
	ds_read_b128 v[44:47], v252 offset:18432                   // 0000000139E0: D9FE4800 2C0000FC
	ds_read_b128 v[48:51], v252 offset:19456                   // 0000000139E8: D9FE4C00 300000FC
	s_waitcnt vmcnt(10)                                        // 0000000139F0: BF8C0F7A
	v_lshrrev_b32_e32 v211, 4, v0                              // 0000000139F4: 21A60084
	v_lshlrev_b32_e32 v211, 4, v211                            // 0000000139F8: 25A7A684
	v_add_u32_e32 v204, s64, v211                              // 0000000139FC: 6999A640
	v_add_u32_e32 v204, 4, v204                                // 000000013A00: 69999884
	v_sub_i32 v204, v204, s62                                  // 000000013A04: D29D00CC 00007DCC
	s_mov_b32 s54, 0                                           // 000000013A0C: BEB60080
	v_add_i32 v205, s54, v204                                  // 000000013A10: D29C00CD 00039836
	v_cmp_lt_i32_e64 vcc, v205, 4                              // 000000013A18: D0C1006A 000109CD
	v_min_u32_e32 v205, 4, v205                                // 000000013A20: 1D9B9A84
	v_lshlrev_b32_e32 v205, 3, v205                            // 000000013A24: 259B9A83
	v_lshrrev_b32_e64 v206, v205, -1                           // 000000013A28: D11000CE 000183CD
	v_accvgpr_read_b32 v207, a120                              // 000000013A30: D3D840CF 18000178
	v_cndmask_b32_e32 v207, 0, v207, vcc                       // 000000013A38: 019F9E80
	v_and_b32_e32 v207, v207, v206                             // 000000013A3C: 279F9DCF
	v_accvgpr_write_b32 a120, v207                             // 000000013A40: D3D94078 180001CF
	v_accvgpr_read_b32 v207, a136                              // 000000013A48: D3D840CF 18000188
	v_cndmask_b32_e32 v207, 0, v207, vcc                       // 000000013A50: 019F9E80
	v_and_b32_e32 v207, v207, v206                             // 000000013A54: 279F9DCF
	v_accvgpr_write_b32 a136, v207                             // 000000013A58: D3D94088 180001CF
	s_mov_b32 s54, 4                                           // 000000013A60: BEB60084
	v_add_i32 v205, s54, v204                                  // 000000013A64: D29C00CD 00039836
	v_cmp_lt_i32_e64 vcc, v205, 4                              // 000000013A6C: D0C1006A 000109CD
	v_min_u32_e32 v205, 4, v205                                // 000000013A74: 1D9B9A84
	v_lshlrev_b32_e32 v205, 3, v205                            // 000000013A78: 259B9A83
	v_lshrrev_b32_e64 v206, v205, -1                           // 000000013A7C: D11000CE 000183CD
	v_accvgpr_read_b32 v207, a121                              // 000000013A84: D3D840CF 18000179
	v_cndmask_b32_e32 v207, 0, v207, vcc                       // 000000013A8C: 019F9E80
	v_and_b32_e32 v207, v207, v206                             // 000000013A90: 279F9DCF
	v_accvgpr_write_b32 a121, v207                             // 000000013A94: D3D94079 180001CF
	v_accvgpr_read_b32 v207, a137                              // 000000013A9C: D3D840CF 18000189
	v_cndmask_b32_e32 v207, 0, v207, vcc                       // 000000013AA4: 019F9E80
	v_and_b32_e32 v207, v207, v206                             // 000000013AA8: 279F9DCF
	v_accvgpr_write_b32 a137, v207                             // 000000013AAC: D3D94089 180001CF
	s_mov_b32 s54, 8                                           // 000000013AB4: BEB60088
	v_add_i32 v205, s54, v204                                  // 000000013AB8: D29C00CD 00039836
	v_cmp_lt_i32_e64 vcc, v205, 4                              // 000000013AC0: D0C1006A 000109CD
	v_min_u32_e32 v205, 4, v205                                // 000000013AC8: 1D9B9A84
	v_lshlrev_b32_e32 v205, 3, v205                            // 000000013ACC: 259B9A83
	v_lshrrev_b32_e64 v206, v205, -1                           // 000000013AD0: D11000CE 000183CD
	v_accvgpr_read_b32 v207, a122                              // 000000013AD8: D3D840CF 1800017A
	v_cndmask_b32_e32 v207, 0, v207, vcc                       // 000000013AE0: 019F9E80
	v_and_b32_e32 v207, v207, v206                             // 000000013AE4: 279F9DCF
	v_accvgpr_write_b32 a122, v207                             // 000000013AE8: D3D9407A 180001CF
	v_accvgpr_read_b32 v207, a138                              // 000000013AF0: D3D840CF 1800018A
	v_cndmask_b32_e32 v207, 0, v207, vcc                       // 000000013AF8: 019F9E80
	v_and_b32_e32 v207, v207, v206                             // 000000013AFC: 279F9DCF
	v_accvgpr_write_b32 a138, v207                             // 000000013B00: D3D9408A 180001CF
	s_mov_b32 s54, 12                                          // 000000013B08: BEB6008C
	v_add_i32 v205, s54, v204                                  // 000000013B0C: D29C00CD 00039836
	v_cmp_lt_i32_e64 vcc, v205, 4                              // 000000013B14: D0C1006A 000109CD
	v_min_u32_e32 v205, 4, v205                                // 000000013B1C: 1D9B9A84
	v_lshlrev_b32_e32 v205, 3, v205                            // 000000013B20: 259B9A83
	v_lshrrev_b32_e64 v206, v205, -1                           // 000000013B24: D11000CE 000183CD
	v_accvgpr_read_b32 v207, a123                              // 000000013B2C: D3D840CF 1800017B
	v_cndmask_b32_e32 v207, 0, v207, vcc                       // 000000013B34: 019F9E80
	v_and_b32_e32 v207, v207, v206                             // 000000013B38: 279F9DCF
	v_accvgpr_write_b32 a123, v207                             // 000000013B3C: D3D9407B 180001CF
	v_accvgpr_read_b32 v207, a139                              // 000000013B44: D3D840CF 1800018B
	v_cndmask_b32_e32 v207, 0, v207, vcc                       // 000000013B4C: 019F9E80
	v_and_b32_e32 v207, v207, v206                             // 000000013B50: 279F9DCF
	v_accvgpr_write_b32 a139, v207                             // 000000013B54: D3D9408B 180001CF
	s_mov_b32 s54, 64                                          // 000000013B5C: BEB600C0
	v_add_i32 v205, s54, v204                                  // 000000013B60: D29C00CD 00039836
	v_cmp_lt_i32_e64 vcc, v205, 4                              // 000000013B68: D0C1006A 000109CD
	v_min_u32_e32 v205, 4, v205                                // 000000013B70: 1D9B9A84
	v_lshlrev_b32_e32 v205, 3, v205                            // 000000013B74: 259B9A83
	v_lshrrev_b32_e64 v206, v205, -1                           // 000000013B78: D11000CE 000183CD
	v_accvgpr_read_b32 v207, a124                              // 000000013B80: D3D840CF 1800017C
	v_cndmask_b32_e32 v207, 0, v207, vcc                       // 000000013B88: 019F9E80
	v_and_b32_e32 v207, v207, v206                             // 000000013B8C: 279F9DCF
	v_accvgpr_write_b32 a124, v207                             // 000000013B90: D3D9407C 180001CF
	v_accvgpr_read_b32 v207, a140                              // 000000013B98: D3D840CF 1800018C
	v_cndmask_b32_e32 v207, 0, v207, vcc                       // 000000013BA0: 019F9E80
	v_and_b32_e32 v207, v207, v206                             // 000000013BA4: 279F9DCF
	v_accvgpr_write_b32 a140, v207                             // 000000013BA8: D3D9408C 180001CF
	s_mov_b32 s54, 0x44                                        // 000000013BB0: BEB600FF 00000044
	v_add_i32 v205, s54, v204                                  // 000000013BB8: D29C00CD 00039836
	v_cmp_lt_i32_e64 vcc, v205, 4                              // 000000013BC0: D0C1006A 000109CD
	v_min_u32_e32 v205, 4, v205                                // 000000013BC8: 1D9B9A84
	v_lshlrev_b32_e32 v205, 3, v205                            // 000000013BCC: 259B9A83
	v_lshrrev_b32_e64 v206, v205, -1                           // 000000013BD0: D11000CE 000183CD
	v_accvgpr_read_b32 v207, a125                              // 000000013BD8: D3D840CF 1800017D
	v_cndmask_b32_e32 v207, 0, v207, vcc                       // 000000013BE0: 019F9E80
	v_and_b32_e32 v207, v207, v206                             // 000000013BE4: 279F9DCF
	v_accvgpr_write_b32 a125, v207                             // 000000013BE8: D3D9407D 180001CF
	v_accvgpr_read_b32 v207, a141                              // 000000013BF0: D3D840CF 1800018D
	v_cndmask_b32_e32 v207, 0, v207, vcc                       // 000000013BF8: 019F9E80
	v_and_b32_e32 v207, v207, v206                             // 000000013BFC: 279F9DCF
	v_accvgpr_write_b32 a141, v207                             // 000000013C00: D3D9408D 180001CF
	s_mov_b32 s54, 0x48                                        // 000000013C08: BEB600FF 00000048
	v_add_i32 v205, s54, v204                                  // 000000013C10: D29C00CD 00039836
	v_cmp_lt_i32_e64 vcc, v205, 4                              // 000000013C18: D0C1006A 000109CD
	v_min_u32_e32 v205, 4, v205                                // 000000013C20: 1D9B9A84
	v_lshlrev_b32_e32 v205, 3, v205                            // 000000013C24: 259B9A83
	v_lshrrev_b32_e64 v206, v205, -1                           // 000000013C28: D11000CE 000183CD
	v_accvgpr_read_b32 v207, a126                              // 000000013C30: D3D840CF 1800017E
	v_cndmask_b32_e32 v207, 0, v207, vcc                       // 000000013C38: 019F9E80
	v_and_b32_e32 v207, v207, v206                             // 000000013C3C: 279F9DCF
	v_accvgpr_write_b32 a126, v207                             // 000000013C40: D3D9407E 180001CF
	v_accvgpr_read_b32 v207, a142                              // 000000013C48: D3D840CF 1800018E
	v_cndmask_b32_e32 v207, 0, v207, vcc                       // 000000013C50: 019F9E80
	v_and_b32_e32 v207, v207, v206                             // 000000013C54: 279F9DCF
	v_accvgpr_write_b32 a142, v207                             // 000000013C58: D3D9408E 180001CF
	s_mov_b32 s54, 0x4c                                        // 000000013C60: BEB600FF 0000004C
	v_add_i32 v205, s54, v204                                  // 000000013C68: D29C00CD 00039836
	v_cmp_lt_i32_e64 vcc, v205, 4                              // 000000013C70: D0C1006A 000109CD
	v_min_u32_e32 v205, 4, v205                                // 000000013C78: 1D9B9A84
	v_lshlrev_b32_e32 v205, 3, v205                            // 000000013C7C: 259B9A83
	v_lshrrev_b32_e64 v206, v205, -1                           // 000000013C80: D11000CE 000183CD
	v_accvgpr_read_b32 v207, a127                              // 000000013C88: D3D840CF 1800017F
	v_cndmask_b32_e32 v207, 0, v207, vcc                       // 000000013C90: 019F9E80
	v_and_b32_e32 v207, v207, v206                             // 000000013C94: 279F9DCF
	v_accvgpr_write_b32 a127, v207                             // 000000013C98: D3D9407F 180001CF
	v_accvgpr_read_b32 v207, a143                              // 000000013CA0: D3D840CF 1800018F
	v_cndmask_b32_e32 v207, 0, v207, vcc                       // 000000013CA8: 019F9E80
	v_and_b32_e32 v207, v207, v206                             // 000000013CAC: 279F9DCF
	v_accvgpr_write_b32 a143, v207                             // 000000013CB0: D3D9408F 180001CF
	s_mov_b32 s54, 0x80                                        // 000000013CB8: BEB600FF 00000080
	v_add_i32 v205, s54, v204                                  // 000000013CC0: D29C00CD 00039836
	v_cmp_lt_i32_e64 vcc, v205, 4                              // 000000013CC8: D0C1006A 000109CD
	v_min_u32_e32 v205, 4, v205                                // 000000013CD0: 1D9B9A84
	v_lshlrev_b32_e32 v205, 3, v205                            // 000000013CD4: 259B9A83
	v_lshrrev_b32_e64 v206, v205, -1                           // 000000013CD8: D11000CE 000183CD
	v_accvgpr_read_b32 v207, a128                              // 000000013CE0: D3D840CF 18000180
	v_cndmask_b32_e32 v207, 0, v207, vcc                       // 000000013CE8: 019F9E80
	v_and_b32_e32 v207, v207, v206                             // 000000013CEC: 279F9DCF
	v_accvgpr_write_b32 a128, v207                             // 000000013CF0: D3D94080 180001CF
	v_accvgpr_read_b32 v207, a144                              // 000000013CF8: D3D840CF 18000190
	v_cndmask_b32_e32 v207, 0, v207, vcc                       // 000000013D00: 019F9E80
	v_and_b32_e32 v207, v207, v206                             // 000000013D04: 279F9DCF
	v_accvgpr_write_b32 a144, v207                             // 000000013D08: D3D94090 180001CF
	s_mov_b32 s54, 0x84                                        // 000000013D10: BEB600FF 00000084
	v_add_i32 v205, s54, v204                                  // 000000013D18: D29C00CD 00039836
	v_cmp_lt_i32_e64 vcc, v205, 4                              // 000000013D20: D0C1006A 000109CD
	v_min_u32_e32 v205, 4, v205                                // 000000013D28: 1D9B9A84
	v_lshlrev_b32_e32 v205, 3, v205                            // 000000013D2C: 259B9A83
	v_lshrrev_b32_e64 v206, v205, -1                           // 000000013D30: D11000CE 000183CD
	v_accvgpr_read_b32 v207, a129                              // 000000013D38: D3D840CF 18000181
	v_cndmask_b32_e32 v207, 0, v207, vcc                       // 000000013D40: 019F9E80
	v_and_b32_e32 v207, v207, v206                             // 000000013D44: 279F9DCF
	v_accvgpr_write_b32 a129, v207                             // 000000013D48: D3D94081 180001CF
	v_accvgpr_read_b32 v207, a145                              // 000000013D50: D3D840CF 18000191
	v_cndmask_b32_e32 v207, 0, v207, vcc                       // 000000013D58: 019F9E80
	v_and_b32_e32 v207, v207, v206                             // 000000013D5C: 279F9DCF
	v_accvgpr_write_b32 a145, v207                             // 000000013D60: D3D94091 180001CF
	s_mov_b32 s54, 0x88                                        // 000000013D68: BEB600FF 00000088
	v_add_i32 v205, s54, v204                                  // 000000013D70: D29C00CD 00039836
	v_cmp_lt_i32_e64 vcc, v205, 4                              // 000000013D78: D0C1006A 000109CD
	v_min_u32_e32 v205, 4, v205                                // 000000013D80: 1D9B9A84
	v_lshlrev_b32_e32 v205, 3, v205                            // 000000013D84: 259B9A83
	v_lshrrev_b32_e64 v206, v205, -1                           // 000000013D88: D11000CE 000183CD
	v_accvgpr_read_b32 v207, a130                              // 000000013D90: D3D840CF 18000182
	v_cndmask_b32_e32 v207, 0, v207, vcc                       // 000000013D98: 019F9E80
	v_and_b32_e32 v207, v207, v206                             // 000000013D9C: 279F9DCF
	v_accvgpr_write_b32 a130, v207                             // 000000013DA0: D3D94082 180001CF
	v_accvgpr_read_b32 v207, a146                              // 000000013DA8: D3D840CF 18000192
	v_cndmask_b32_e32 v207, 0, v207, vcc                       // 000000013DB0: 019F9E80
	v_and_b32_e32 v207, v207, v206                             // 000000013DB4: 279F9DCF
	v_accvgpr_write_b32 a146, v207                             // 000000013DB8: D3D94092 180001CF
	s_mov_b32 s54, 0x8c                                        // 000000013DC0: BEB600FF 0000008C
	v_add_i32 v205, s54, v204                                  // 000000013DC8: D29C00CD 00039836
	v_cmp_lt_i32_e64 vcc, v205, 4                              // 000000013DD0: D0C1006A 000109CD
	v_min_u32_e32 v205, 4, v205                                // 000000013DD8: 1D9B9A84
	v_lshlrev_b32_e32 v205, 3, v205                            // 000000013DDC: 259B9A83
	v_lshrrev_b32_e64 v206, v205, -1                           // 000000013DE0: D11000CE 000183CD
	v_accvgpr_read_b32 v207, a131                              // 000000013DE8: D3D840CF 18000183
	v_cndmask_b32_e32 v207, 0, v207, vcc                       // 000000013DF0: 019F9E80
	v_and_b32_e32 v207, v207, v206                             // 000000013DF4: 279F9DCF
	v_accvgpr_write_b32 a131, v207                             // 000000013DF8: D3D94083 180001CF
	v_accvgpr_read_b32 v207, a147                              // 000000013E00: D3D840CF 18000193
	v_cndmask_b32_e32 v207, 0, v207, vcc                       // 000000013E08: 019F9E80
	v_and_b32_e32 v207, v207, v206                             // 000000013E0C: 279F9DCF
	v_accvgpr_write_b32 a147, v207                             // 000000013E10: D3D94093 180001CF
	s_mov_b32 s54, 0xc0                                        // 000000013E18: BEB600FF 000000C0
	v_add_i32 v205, s54, v204                                  // 000000013E20: D29C00CD 00039836
	v_cmp_lt_i32_e64 vcc, v205, 4                              // 000000013E28: D0C1006A 000109CD
	v_min_u32_e32 v205, 4, v205                                // 000000013E30: 1D9B9A84
	v_lshlrev_b32_e32 v205, 3, v205                            // 000000013E34: 259B9A83
	v_lshrrev_b32_e64 v206, v205, -1                           // 000000013E38: D11000CE 000183CD
	v_accvgpr_read_b32 v207, a132                              // 000000013E40: D3D840CF 18000184
	v_cndmask_b32_e32 v207, 0, v207, vcc                       // 000000013E48: 019F9E80
	v_and_b32_e32 v207, v207, v206                             // 000000013E4C: 279F9DCF
	v_accvgpr_write_b32 a132, v207                             // 000000013E50: D3D94084 180001CF
	v_accvgpr_read_b32 v207, a148                              // 000000013E58: D3D840CF 18000194
	v_cndmask_b32_e32 v207, 0, v207, vcc                       // 000000013E60: 019F9E80
	v_and_b32_e32 v207, v207, v206                             // 000000013E64: 279F9DCF
	v_accvgpr_write_b32 a148, v207                             // 000000013E68: D3D94094 180001CF
	s_mov_b32 s54, 0xc4                                        // 000000013E70: BEB600FF 000000C4
	v_add_i32 v205, s54, v204                                  // 000000013E78: D29C00CD 00039836
	v_cmp_lt_i32_e64 vcc, v205, 4                              // 000000013E80: D0C1006A 000109CD
	v_min_u32_e32 v205, 4, v205                                // 000000013E88: 1D9B9A84
	v_lshlrev_b32_e32 v205, 3, v205                            // 000000013E8C: 259B9A83
	v_lshrrev_b32_e64 v206, v205, -1                           // 000000013E90: D11000CE 000183CD
	v_accvgpr_read_b32 v207, a133                              // 000000013E98: D3D840CF 18000185
	v_cndmask_b32_e32 v207, 0, v207, vcc                       // 000000013EA0: 019F9E80
	v_and_b32_e32 v207, v207, v206                             // 000000013EA4: 279F9DCF
	v_accvgpr_write_b32 a133, v207                             // 000000013EA8: D3D94085 180001CF
	v_accvgpr_read_b32 v207, a149                              // 000000013EB0: D3D840CF 18000195
	v_cndmask_b32_e32 v207, 0, v207, vcc                       // 000000013EB8: 019F9E80
	v_and_b32_e32 v207, v207, v206                             // 000000013EBC: 279F9DCF
	v_accvgpr_write_b32 a149, v207                             // 000000013EC0: D3D94095 180001CF
	s_mov_b32 s54, 0xc8                                        // 000000013EC8: BEB600FF 000000C8
	v_add_i32 v205, s54, v204                                  // 000000013ED0: D29C00CD 00039836
	v_cmp_lt_i32_e64 vcc, v205, 4                              // 000000013ED8: D0C1006A 000109CD
	v_min_u32_e32 v205, 4, v205                                // 000000013EE0: 1D9B9A84
	v_lshlrev_b32_e32 v205, 3, v205                            // 000000013EE4: 259B9A83
	v_lshrrev_b32_e64 v206, v205, -1                           // 000000013EE8: D11000CE 000183CD
	v_accvgpr_read_b32 v207, a134                              // 000000013EF0: D3D840CF 18000186
	v_cndmask_b32_e32 v207, 0, v207, vcc                       // 000000013EF8: 019F9E80
	v_and_b32_e32 v207, v207, v206                             // 000000013EFC: 279F9DCF
	v_accvgpr_write_b32 a134, v207                             // 000000013F00: D3D94086 180001CF
	v_accvgpr_read_b32 v207, a150                              // 000000013F08: D3D840CF 18000196
	v_cndmask_b32_e32 v207, 0, v207, vcc                       // 000000013F10: 019F9E80
	v_and_b32_e32 v207, v207, v206                             // 000000013F14: 279F9DCF
	v_accvgpr_write_b32 a150, v207                             // 000000013F18: D3D94096 180001CF
	s_mov_b32 s54, 0xcc                                        // 000000013F20: BEB600FF 000000CC
	v_add_i32 v205, s54, v204                                  // 000000013F28: D29C00CD 00039836
	v_cmp_lt_i32_e64 vcc, v205, 4                              // 000000013F30: D0C1006A 000109CD
	v_min_u32_e32 v205, 4, v205                                // 000000013F38: 1D9B9A84
	v_lshlrev_b32_e32 v205, 3, v205                            // 000000013F3C: 259B9A83
	v_lshrrev_b32_e64 v206, v205, -1                           // 000000013F40: D11000CE 000183CD
	v_accvgpr_read_b32 v207, a135                              // 000000013F48: D3D840CF 18000187
	v_cndmask_b32_e32 v207, 0, v207, vcc                       // 000000013F50: 019F9E80
	v_and_b32_e32 v207, v207, v206                             // 000000013F54: 279F9DCF
	v_accvgpr_write_b32 a135, v207                             // 000000013F58: D3D94087 180001CF
	v_accvgpr_read_b32 v207, a151                              // 000000013F60: D3D840CF 18000197
	v_cndmask_b32_e32 v207, 0, v207, vcc                       // 000000013F68: 019F9E80
	v_and_b32_e32 v207, v207, v206                             // 000000013F6C: 279F9DCF
	v_accvgpr_write_b32 a151, v207                             // 000000013F70: D3D94097 180001CF
	s_waitcnt lgkmcnt(11)                                      // 000000013F78: BF8CCB7F
	v_mfma_f32_16x16x32_fp8_fp8 v[100:103], a[120:121], v[4:5], 0// 000000013F7C: D3F30064 0A020978
	v_mfma_f32_16x16x32_fp8_fp8 v[104:107], a[136:137], v[4:5], 0// 000000013F84: D3F30068 0A020988
	v_mfma_f32_16x16x32_fp8_fp8 v[100:103], a[122:123], v[6:7], v[100:103]// 000000013F8C: D3F30064 0D920D7A
	buffer_load_dwordx4 a[88:91], v231, s[16:19], 0 offen      // 000000013F94: E05C1000 808458E7
	v_mfma_f32_16x16x32_fp8_fp8 v[104:107], a[138:139], v[6:7], v[104:107]// 000000013F9C: D3F30068 0DA20D8A
	s_waitcnt lgkmcnt(10)                                      // 000000013FA4: BF8CCA7F
	v_mfma_f32_16x16x32_fp8_fp8 v[100:103], a[124:125], v[8:9], v[100:103]// 000000013FA8: D3F30064 0D92117C
	v_mfma_f32_16x16x32_fp8_fp8 v[104:107], a[140:141], v[8:9], v[104:107]// 000000013FB0: D3F30068 0DA2118C
	v_mfma_f32_16x16x32_fp8_fp8 v[100:103], a[126:127], v[10:11], v[100:103]// 000000013FB8: D3F30064 0D92157E
	buffer_load_dwordx4 a[92:95], v232, s[16:19], 0 offen      // 000000013FC0: E05C1000 80845CE8
	v_mfma_f32_16x16x32_fp8_fp8 v[104:107], a[142:143], v[10:11], v[104:107]// 000000013FC8: D3F30068 0DA2158E
	s_waitcnt lgkmcnt(9)                                       // 000000013FD0: BF8CC97F
	v_mfma_f32_16x16x32_fp8_fp8 v[100:103], a[128:129], v[12:13], v[100:103]// 000000013FD4: D3F30064 0D921980
	v_mfma_f32_16x16x32_fp8_fp8 v[104:107], a[144:145], v[12:13], v[104:107]// 000000013FDC: D3F30068 0DA21990
	v_mfma_f32_16x16x32_fp8_fp8 v[100:103], a[130:131], v[14:15], v[100:103]// 000000013FE4: D3F30064 0D921D82
	buffer_load_dwordx4 a[96:99], v233, s[16:19], 0 offen      // 000000013FEC: E05C1000 808460E9
	v_mfma_f32_16x16x32_fp8_fp8 v[104:107], a[146:147], v[14:15], v[104:107]// 000000013FF4: D3F30068 0DA21D92
	s_waitcnt lgkmcnt(8)                                       // 000000013FFC: BF8CC87F
	v_mfma_f32_16x16x32_fp8_fp8 v[100:103], a[132:133], v[16:17], v[100:103]// 000000014000: D3F30064 0D922184
	v_mfma_f32_16x16x32_fp8_fp8 v[104:107], a[148:149], v[16:17], v[104:107]// 000000014008: D3F30068 0DA22194
	v_mfma_f32_16x16x32_fp8_fp8 v[100:103], a[134:135], v[18:19], v[100:103]// 000000014010: D3F30064 0D922586
	buffer_load_dwordx4 a[100:103], v234, s[16:19], 0 offen    // 000000014018: E05C1000 808464EA
	v_mfma_f32_16x16x32_fp8_fp8 v[104:107], a[150:151], v[18:19], v[104:107]// 000000014020: D3F30068 0DA22596
	s_waitcnt lgkmcnt(7)                                       // 000000014028: BF8CC77F
	v_mfma_f32_16x16x32_fp8_fp8 v[108:111], a[120:121], v[20:21], 0// 00000001402C: D3F3006C 0A022978
	v_mfma_f32_16x16x32_fp8_fp8 v[112:115], a[136:137], v[20:21], 0// 000000014034: D3F30070 0A022988
	v_mfma_f32_16x16x32_fp8_fp8 v[108:111], a[122:123], v[22:23], v[108:111]// 00000001403C: D3F3006C 0DB22D7A
	buffer_load_dwordx4 a[104:107], v231, s[16:19], 0 offen offset:1024// 000000014044: E05C1400 808468E7
	v_mfma_f32_16x16x32_fp8_fp8 v[112:115], a[138:139], v[22:23], v[112:115]// 00000001404C: D3F30070 0DC22D8A
	s_waitcnt lgkmcnt(6)                                       // 000000014054: BF8CC67F
	v_mfma_f32_16x16x32_fp8_fp8 v[108:111], a[124:125], v[24:25], v[108:111]// 000000014058: D3F3006C 0DB2317C
	v_mfma_f32_16x16x32_fp8_fp8 v[112:115], a[140:141], v[24:25], v[112:115]// 000000014060: D3F30070 0DC2318C
	v_mfma_f32_16x16x32_fp8_fp8 v[108:111], a[126:127], v[26:27], v[108:111]// 000000014068: D3F3006C 0DB2357E
	buffer_load_dwordx4 a[108:111], v232, s[16:19], 0 offen offset:1024// 000000014070: E05C1400 80846CE8
	v_mfma_f32_16x16x32_fp8_fp8 v[112:115], a[142:143], v[26:27], v[112:115]// 000000014078: D3F30070 0DC2358E
	s_waitcnt lgkmcnt(5)                                       // 000000014080: BF8CC57F
	v_mfma_f32_16x16x32_fp8_fp8 v[108:111], a[128:129], v[28:29], v[108:111]// 000000014084: D3F3006C 0DB23980
	v_mfma_f32_16x16x32_fp8_fp8 v[112:115], a[144:145], v[28:29], v[112:115]// 00000001408C: D3F30070 0DC23990
	v_mfma_f32_16x16x32_fp8_fp8 v[108:111], a[130:131], v[30:31], v[108:111]// 000000014094: D3F3006C 0DB23D82
	buffer_load_dwordx4 a[112:115], v233, s[16:19], 0 offen offset:1024// 00000001409C: E05C1400 808470E9
	v_mfma_f32_16x16x32_fp8_fp8 v[112:115], a[146:147], v[30:31], v[112:115]// 0000000140A4: D3F30070 0DC23D92
	s_waitcnt lgkmcnt(4)                                       // 0000000140AC: BF8CC47F
	v_mfma_f32_16x16x32_fp8_fp8 v[108:111], a[132:133], v[32:33], v[108:111]// 0000000140B0: D3F3006C 0DB24184
	v_mfma_f32_16x16x32_fp8_fp8 v[112:115], a[148:149], v[32:33], v[112:115]// 0000000140B8: D3F30070 0DC24194
	v_mfma_f32_16x16x32_fp8_fp8 v[108:111], a[134:135], v[34:35], v[108:111]// 0000000140C0: D3F3006C 0DB24586
	buffer_load_dwordx4 a[116:119], v234, s[16:19], 0 offen offset:1024// 0000000140C8: E05C1400 808474EA
	v_mfma_f32_16x16x32_fp8_fp8 v[112:115], a[150:151], v[34:35], v[112:115]// 0000000140D0: D3F30070 0DC24596
	s_waitcnt lgkmcnt(3)                                       // 0000000140D8: BF8CC37F
	v_mfma_f32_16x16x32_fp8_fp8 v[116:119], a[120:121], v[36:37], 0// 0000000140DC: D3F30074 0A024978
	v_mfma_f32_16x16x32_fp8_fp8 v[120:123], a[136:137], v[36:37], 0// 0000000140E4: D3F30078 0A024988
	v_mfma_f32_16x16x32_fp8_fp8 v[116:119], a[122:123], v[38:39], v[116:119]// 0000000140EC: D3F30074 0DD24D7A
	v_mfma_f32_16x16x32_fp8_fp8 v[120:123], a[138:139], v[38:39], v[120:123]// 0000000140F4: D3F30078 0DE24D8A
	s_waitcnt lgkmcnt(2)                                       // 0000000140FC: BF8CC27F
	v_mfma_f32_16x16x32_fp8_fp8 v[116:119], a[124:125], v[40:41], v[116:119]// 000000014100: D3F30074 0DD2517C
	v_mfma_f32_16x16x32_fp8_fp8 v[120:123], a[140:141], v[40:41], v[120:123]// 000000014108: D3F30078 0DE2518C
	v_mfma_f32_16x16x32_fp8_fp8 v[116:119], a[126:127], v[42:43], v[116:119]// 000000014110: D3F30074 0DD2557E
	v_mfma_f32_16x16x32_fp8_fp8 v[120:123], a[142:143], v[42:43], v[120:123]// 000000014118: D3F30078 0DE2558E
	s_waitcnt lgkmcnt(1)                                       // 000000014120: BF8CC17F
	v_mfma_f32_16x16x32_fp8_fp8 v[116:119], a[128:129], v[44:45], v[116:119]// 000000014124: D3F30074 0DD25980
	v_mfma_f32_16x16x32_fp8_fp8 v[120:123], a[144:145], v[44:45], v[120:123]// 00000001412C: D3F30078 0DE25990
	v_mfma_f32_16x16x32_fp8_fp8 v[116:119], a[130:131], v[46:47], v[116:119]// 000000014134: D3F30074 0DD25D82
	v_mfma_f32_16x16x32_fp8_fp8 v[120:123], a[146:147], v[46:47], v[120:123]// 00000001413C: D3F30078 0DE25D92
	s_waitcnt lgkmcnt(0)                                       // 000000014144: BF8CC07F
	v_mfma_f32_16x16x32_fp8_fp8 v[116:119], a[132:133], v[48:49], v[116:119]// 000000014148: D3F30074 0DD26184
	v_mfma_f32_16x16x32_fp8_fp8 v[120:123], a[148:149], v[48:49], v[120:123]// 000000014150: D3F30078 0DE26194
	v_mfma_f32_16x16x32_fp8_fp8 v[116:119], a[134:135], v[50:51], v[116:119]// 000000014158: D3F30074 0DD26586
	v_mfma_f32_16x16x32_fp8_fp8 v[120:123], a[150:151], v[50:51], v[120:123]// 000000014160: D3F30078 0DE26596
	s_addk_i32 s64, 0x100                                      // 000000014168: B7400100
	s_branch label_27F4                                        // 00000001416C: BF82E198

0000000000014170 <label_465C>:
	v_pk_mul_f32 v[124:125], v[170:171], v[124:125]            // 000000014170: D3B1407C 1802F9AA
	v_pk_mul_f32 v[126:127], v[170:171], v[126:127]            // 000000014178: D3B1407E 1802FDAA
	v_pk_mul_f32 v[128:129], v[170:171], v[128:129]            // 000000014180: D3B14080 180301AA
	v_pk_mul_f32 v[130:131], v[170:171], v[130:131]            // 000000014188: D3B14082 180305AA
	v_pk_mul_f32 v[132:133], v[172:173], v[132:133]            // 000000014190: D3B14084 180309AC
	v_pk_mul_f32 v[134:135], v[172:173], v[134:135]            // 000000014198: D3B14086 18030DAC
	v_pk_mul_f32 v[136:137], v[172:173], v[136:137]            // 0000000141A0: D3B14088 180311AC
	v_pk_mul_f32 v[138:139], v[172:173], v[138:139]            // 0000000141A8: D3B1408A 180315AC
	v_pk_mul_f32 v[140:141], v[174:175], v[140:141]            // 0000000141B0: D3B1408C 180319AE
	v_pk_mul_f32 v[142:143], v[174:175], v[142:143]            // 0000000141B8: D3B1408E 18031DAE
	v_pk_mul_f32 v[144:145], v[174:175], v[144:145]            // 0000000141C0: D3B14090 180321AE
	v_pk_mul_f32 v[146:147], v[174:175], v[146:147]            // 0000000141C8: D3B14092 180325AE
	ds_bpermute_b32 v188, v208, v176                           // 0000000141D0: D87E0000 BC00B0D0
	ds_bpermute_b32 v189, v209, v176                           // 0000000141D8: D87E0000 BD00B0D1
	ds_bpermute_b32 v190, v210, v176                           // 0000000141E0: D87E0000 BE00B0D2
	ds_bpermute_b32 v191, v208, v178                           // 0000000141E8: D87E0000 BF00B2D0
	ds_bpermute_b32 v192, v209, v178                           // 0000000141F0: D87E0000 C000B2D1
	ds_bpermute_b32 v193, v210, v178                           // 0000000141F8: D87E0000 C100B2D2
	ds_bpermute_b32 v194, v208, v180                           // 000000014200: D87E0000 C200B4D0
	ds_bpermute_b32 v195, v209, v180                           // 000000014208: D87E0000 C300B4D1
	ds_bpermute_b32 v196, v210, v180                           // 000000014210: D87E0000 C400B4D2
	s_waitcnt lgkmcnt(0)                                       // 000000014218: BF8CC07F
	v_add_f32_e32 v176, v188, v176                             // 00000001421C: 036161BC
	v_add_f32_e32 v176, v189, v176                             // 000000014220: 036161BD
	v_add_f32_e32 v176, v190, v176                             // 000000014224: 036161BE
	v_add_f32_e32 v177, v191, v178                             // 000000014228: 036365BF
	v_add_f32_e32 v177, v192, v177                             // 00000001422C: 036363C0
	v_add_f32_e32 v177, v193, v177                             // 000000014230: 036363C1
	v_add_f32_e32 v178, v194, v180                             // 000000014234: 036569C2
	v_add_f32_e32 v178, v195, v178                             // 000000014238: 036565C3
	v_add_f32_e32 v178, v196, v178                             // 00000001423C: 036565C4
	ds_write_b128 v249, v[176:179]                             // 000000014240: D9BE0000 0000B0F9
	v_pk_mul_f32 v[100:101], v[158:159], v[100:101]            // 000000014248: D3B14064 1802C99E
	v_pk_mul_f32 v[102:103], v[158:159], v[102:103]            // 000000014250: D3B14066 1802CD9E
	v_pk_mul_f32 v[104:105], v[158:159], v[104:105]            // 000000014258: D3B14068 1802D19E
	v_pk_mul_f32 v[106:107], v[158:159], v[106:107]            // 000000014260: D3B1406A 1802D59E
	v_pk_mul_f32 v[108:109], v[160:161], v[108:109]            // 000000014268: D3B1406C 1802D9A0
	v_pk_mul_f32 v[110:111], v[160:161], v[110:111]            // 000000014270: D3B1406E 1802DDA0
	v_pk_mul_f32 v[112:113], v[160:161], v[112:113]            // 000000014278: D3B14070 1802E1A0
	v_pk_mul_f32 v[114:115], v[160:161], v[114:115]            // 000000014280: D3B14072 1802E5A0
	v_pk_mul_f32 v[116:117], v[162:163], v[116:117]            // 000000014288: D3B14074 1802E9A2
	v_pk_mul_f32 v[118:119], v[162:163], v[118:119]            // 000000014290: D3B14076 1802EDA2
	v_pk_mul_f32 v[120:121], v[162:163], v[120:121]            // 000000014298: D3B14078 1802F1A2
	v_pk_mul_f32 v[122:123], v[162:163], v[122:123]            // 0000000142A0: D3B1407A 1802F5A2
	s_waitcnt lgkmcnt(0)                                       // 0000000142A8: BF8CC07F
	s_barrier                                                  // 0000000142AC: BF8A0000
	ds_read_b128 v[188:191], v250                              // 0000000142B0: D9FE0000 BC0000FA
	ds_read_b128 v[192:195], v250 offset:256                   // 0000000142B8: D9FE0100 C00000FA
	ds_read_b128 v[196:199], v250 offset:512                   // 0000000142C0: D9FE0200 C40000FA
	ds_read_b128 v[200:203], v250 offset:768                   // 0000000142C8: D9FE0300 C80000FA
	v_pk_add_f32 v[124:125], v[124:125], v[100:101]            // 0000000142D0: D3B2407C 1802C97C
	v_pk_add_f32 v[126:127], v[126:127], v[102:103]            // 0000000142D8: D3B2407E 1802CD7E
	v_pk_add_f32 v[128:129], v[128:129], v[104:105]            // 0000000142E0: D3B24080 1802D180
	v_pk_add_f32 v[130:131], v[130:131], v[106:107]            // 0000000142E8: D3B24082 1802D582
	v_pk_add_f32 v[132:133], v[132:133], v[108:109]            // 0000000142F0: D3B24084 1802D984
	v_pk_add_f32 v[134:135], v[134:135], v[110:111]            // 0000000142F8: D3B24086 1802DD86
	v_pk_add_f32 v[136:137], v[136:137], v[112:113]            // 000000014300: D3B24088 1802E188
	v_pk_add_f32 v[138:139], v[138:139], v[114:115]            // 000000014308: D3B2408A 1802E58A
	v_pk_add_f32 v[140:141], v[140:141], v[116:117]            // 000000014310: D3B2408C 1802E98C
	v_pk_add_f32 v[142:143], v[142:143], v[118:119]            // 000000014318: D3B2408E 1802ED8E
	v_pk_add_f32 v[144:145], v[144:145], v[120:121]            // 000000014320: D3B24090 1802F190
	v_pk_add_f32 v[146:147], v[146:147], v[122:123]            // 000000014328: D3B24092 1802F592
	s_waitcnt lgkmcnt(0)                                       // 000000014330: BF8CC07F
	v_mov_b64_e32 v[176:177], 0                                // 000000014334: 7F607080
	v_mov_b32_e32 v178, 0                                      // 000000014338: 7F640280
	v_add_f32_e32 v176, v188, v176                             // 00000001433C: 036161BC
	v_add_f32_e32 v177, v189, v177                             // 000000014340: 036363BD
	v_add_f32_e32 v178, v190, v178                             // 000000014344: 036565BE
	v_add_f32_e32 v176, v192, v176                             // 000000014348: 036161C0
	v_add_f32_e32 v177, v193, v177                             // 00000001434C: 036363C1
	v_add_f32_e32 v178, v194, v178                             // 000000014350: 036565C2
	v_add_f32_e32 v176, v196, v176                             // 000000014354: 036161C4
	v_add_f32_e32 v177, v197, v177                             // 000000014358: 036363C5
	v_add_f32_e32 v178, v198, v178                             // 00000001435C: 036565C6
	v_add_f32_e32 v176, v200, v176                             // 000000014360: 036161C8
	v_add_f32_e32 v177, v201, v177                             // 000000014364: 036363C9
	v_add_f32_e32 v178, v202, v178                             // 000000014368: 036565CA
	v_rcp_f32_e32 v188, v176                                   // 00000001436C: 7F7845B0
	v_cmp_eq_u32_e64 s[54:55], 0, v176                         // 000000014370: D0CA0036 00036080
	s_nop 0                                                    // 000000014378: BF800000
	v_cndmask_b32_e64 v188, v188, 0, s[54:55]                  // 00000001437C: D10000BC 00D901BC
	v_rcp_f32_e32 v189, v177                                   // 000000014384: 7F7A45B1
	v_cmp_eq_u32_e64 s[54:55], 0, v177                         // 000000014388: D0CA0036 00036280
	s_nop 0                                                    // 000000014390: BF800000
	v_cndmask_b32_e64 v189, v189, 0, s[54:55]                  // 000000014394: D10000BD 00D901BD
	v_rcp_f32_e32 v190, v178                                   // 00000001439C: 7F7C45B2
	v_cmp_eq_u32_e64 s[54:55], 0, v178                         // 0000000143A0: D0CA0036 00036480
	s_nop 0                                                    // 0000000143A8: BF800000
	v_cndmask_b32_e64 v190, v190, 0, s[54:55]                  // 0000000143AC: D10000BE 00D901BE
	v_mul_f32_e32 v124, v188, v124                             // 0000000143B4: 0AF8F9BC
	v_mul_f32_e32 v125, v188, v125                             // 0000000143B8: 0AFAFBBC
	v_mul_f32_e32 v126, v188, v126                             // 0000000143BC: 0AFCFDBC
	v_mul_f32_e32 v127, v188, v127                             // 0000000143C0: 0AFEFFBC
	v_mul_f32_e32 v128, v188, v128                             // 0000000143C4: 0B0101BC
	v_mul_f32_e32 v129, v188, v129                             // 0000000143C8: 0B0303BC
	v_mul_f32_e32 v130, v188, v130                             // 0000000143CC: 0B0505BC
	v_mul_f32_e32 v131, v188, v131                             // 0000000143D0: 0B0707BC
	v_mul_f32_e32 v132, v189, v132                             // 0000000143D4: 0B0909BD
	v_mul_f32_e32 v133, v189, v133                             // 0000000143D8: 0B0B0BBD
	v_mul_f32_e32 v134, v189, v134                             // 0000000143DC: 0B0D0DBD
	v_mul_f32_e32 v135, v189, v135                             // 0000000143E0: 0B0F0FBD
	v_mul_f32_e32 v136, v189, v136                             // 0000000143E4: 0B1111BD
	v_mul_f32_e32 v137, v189, v137                             // 0000000143E8: 0B1313BD
	v_mul_f32_e32 v138, v189, v138                             // 0000000143EC: 0B1515BD
	v_mul_f32_e32 v139, v189, v139                             // 0000000143F0: 0B1717BD
	v_mul_f32_e32 v140, v190, v140                             // 0000000143F4: 0B1919BE
	v_mul_f32_e32 v141, v190, v141                             // 0000000143F8: 0B1B1BBE
	v_mul_f32_e32 v142, v190, v142                             // 0000000143FC: 0B1D1DBE
	v_mul_f32_e32 v143, v190, v143                             // 000000014400: 0B1F1FBE
	v_mul_f32_e32 v144, v190, v144                             // 000000014404: 0B2121BE
	v_mul_f32_e32 v145, v190, v145                             // 000000014408: 0B2323BE
	v_mul_f32_e32 v146, v190, v146                             // 00000001440C: 0B2525BE
	v_mul_f32_e32 v147, v190, v147                             // 000000014410: 0B2727BE
	s_cmp_eq_i32 s73, -1                                       // 000000014414: BF00C149
	s_cbranch_scc0 label_47CD                                  // 000000014418: BF8400C6
	v_cmp_u_f32_e64 s[98:99], v124, v124                       // 00000001441C: D0480062 0002F97C
	v_add3_u32 v214, v124, v217, 1                             // 000000014424: D1FF00D6 0207B37C
	v_cndmask_b32_e64 v204, v214, v216, s[98:99]               // 00000001442C: D10000CC 018BB1D6
	v_cmp_u_f32_e64 s[98:99], v125, v125                       // 000000014434: D0480062 0002FB7D
	v_add3_u32 v214, v125, v217, 1                             // 00000001443C: D1FF00D6 0207B37D
	v_cndmask_b32_e64 v205, v214, v216, s[98:99]               // 000000014444: D10000CD 018BB1D6
	v_perm_b32 v124, v205, v204, s56                           // 00000001444C: D1ED007C 00E399CD
	v_cmp_u_f32_e64 s[98:99], v126, v126                       // 000000014454: D0480062 0002FD7E
	v_add3_u32 v214, v126, v217, 1                             // 00000001445C: D1FF00D6 0207B37E
	v_cndmask_b32_e64 v204, v214, v216, s[98:99]               // 000000014464: D10000CC 018BB1D6
	v_cmp_u_f32_e64 s[98:99], v127, v127                       // 00000001446C: D0480062 0002FF7F
	v_add3_u32 v214, v127, v217, 1                             // 000000014474: D1FF00D6 0207B37F
	v_cndmask_b32_e64 v205, v214, v216, s[98:99]               // 00000001447C: D10000CD 018BB1D6
	v_perm_b32 v125, v205, v204, s56                           // 000000014484: D1ED007D 00E399CD
	v_cmp_u_f32_e64 s[98:99], v128, v128                       // 00000001448C: D0480062 00030180
	v_add3_u32 v214, v128, v217, 1                             // 000000014494: D1FF00D6 0207B380
	v_cndmask_b32_e64 v204, v214, v216, s[98:99]               // 00000001449C: D10000CC 018BB1D6
	v_cmp_u_f32_e64 s[98:99], v129, v129                       // 0000000144A4: D0480062 00030381
	v_add3_u32 v214, v129, v217, 1                             // 0000000144AC: D1FF00D6 0207B381
	v_cndmask_b32_e64 v205, v214, v216, s[98:99]               // 0000000144B4: D10000CD 018BB1D6
	v_perm_b32 v126, v205, v204, s56                           // 0000000144BC: D1ED007E 00E399CD
	v_cmp_u_f32_e64 s[98:99], v130, v130                       // 0000000144C4: D0480062 00030582
	v_add3_u32 v214, v130, v217, 1                             // 0000000144CC: D1FF00D6 0207B382
	v_cndmask_b32_e64 v204, v214, v216, s[98:99]               // 0000000144D4: D10000CC 018BB1D6
	v_cmp_u_f32_e64 s[98:99], v131, v131                       // 0000000144DC: D0480062 00030783
	v_add3_u32 v214, v131, v217, 1                             // 0000000144E4: D1FF00D6 0207B383
	v_cndmask_b32_e64 v205, v214, v216, s[98:99]               // 0000000144EC: D10000CD 018BB1D6
	v_perm_b32 v127, v205, v204, s56                           // 0000000144F4: D1ED007F 00E399CD
	v_cmp_u_f32_e64 s[98:99], v132, v132                       // 0000000144FC: D0480062 00030984
	v_add3_u32 v214, v132, v217, 1                             // 000000014504: D1FF00D6 0207B384
	v_cndmask_b32_e64 v204, v214, v216, s[98:99]               // 00000001450C: D10000CC 018BB1D6
	v_cmp_u_f32_e64 s[98:99], v133, v133                       // 000000014514: D0480062 00030B85
	v_add3_u32 v214, v133, v217, 1                             // 00000001451C: D1FF00D6 0207B385
	v_cndmask_b32_e64 v205, v214, v216, s[98:99]               // 000000014524: D10000CD 018BB1D6
	v_perm_b32 v128, v205, v204, s56                           // 00000001452C: D1ED0080 00E399CD
	v_cmp_u_f32_e64 s[98:99], v134, v134                       // 000000014534: D0480062 00030D86
	v_add3_u32 v214, v134, v217, 1                             // 00000001453C: D1FF00D6 0207B386
	v_cndmask_b32_e64 v204, v214, v216, s[98:99]               // 000000014544: D10000CC 018BB1D6
	v_cmp_u_f32_e64 s[98:99], v135, v135                       // 00000001454C: D0480062 00030F87
	v_add3_u32 v214, v135, v217, 1                             // 000000014554: D1FF00D6 0207B387
	v_cndmask_b32_e64 v205, v214, v216, s[98:99]               // 00000001455C: D10000CD 018BB1D6
	v_perm_b32 v129, v205, v204, s56                           // 000000014564: D1ED0081 00E399CD
	v_cmp_u_f32_e64 s[98:99], v136, v136                       // 00000001456C: D0480062 00031188
	v_add3_u32 v214, v136, v217, 1                             // 000000014574: D1FF00D6 0207B388
	v_cndmask_b32_e64 v204, v214, v216, s[98:99]               // 00000001457C: D10000CC 018BB1D6
	v_cmp_u_f32_e64 s[98:99], v137, v137                       // 000000014584: D0480062 00031389
	v_add3_u32 v214, v137, v217, 1                             // 00000001458C: D1FF00D6 0207B389
	v_cndmask_b32_e64 v205, v214, v216, s[98:99]               // 000000014594: D10000CD 018BB1D6
	v_perm_b32 v130, v205, v204, s56                           // 00000001459C: D1ED0082 00E399CD
	v_cmp_u_f32_e64 s[98:99], v138, v138                       // 0000000145A4: D0480062 0003158A
	v_add3_u32 v214, v138, v217, 1                             // 0000000145AC: D1FF00D6 0207B38A
	v_cndmask_b32_e64 v204, v214, v216, s[98:99]               // 0000000145B4: D10000CC 018BB1D6
	v_cmp_u_f32_e64 s[98:99], v139, v139                       // 0000000145BC: D0480062 0003178B
	v_add3_u32 v214, v139, v217, 1                             // 0000000145C4: D1FF00D6 0207B38B
	v_cndmask_b32_e64 v205, v214, v216, s[98:99]               // 0000000145CC: D10000CD 018BB1D6
	v_perm_b32 v131, v205, v204, s56                           // 0000000145D4: D1ED0083 00E399CD
	v_cmp_u_f32_e64 s[98:99], v140, v140                       // 0000000145DC: D0480062 0003198C
	v_add3_u32 v214, v140, v217, 1                             // 0000000145E4: D1FF00D6 0207B38C
	v_cndmask_b32_e64 v204, v214, v216, s[98:99]               // 0000000145EC: D10000CC 018BB1D6
	v_cmp_u_f32_e64 s[98:99], v141, v141                       // 0000000145F4: D0480062 00031B8D
	v_add3_u32 v214, v141, v217, 1                             // 0000000145FC: D1FF00D6 0207B38D
	v_cndmask_b32_e64 v205, v214, v216, s[98:99]               // 000000014604: D10000CD 018BB1D6
	v_perm_b32 v132, v205, v204, s56                           // 00000001460C: D1ED0084 00E399CD
	v_cmp_u_f32_e64 s[98:99], v142, v142                       // 000000014614: D0480062 00031D8E
	v_add3_u32 v214, v142, v217, 1                             // 00000001461C: D1FF00D6 0207B38E
	v_cndmask_b32_e64 v204, v214, v216, s[98:99]               // 000000014624: D10000CC 018BB1D6
	v_cmp_u_f32_e64 s[98:99], v143, v143                       // 00000001462C: D0480062 00031F8F
	v_add3_u32 v214, v143, v217, 1                             // 000000014634: D1FF00D6 0207B38F
	v_cndmask_b32_e64 v205, v214, v216, s[98:99]               // 00000001463C: D10000CD 018BB1D6
	v_perm_b32 v133, v205, v204, s56                           // 000000014644: D1ED0085 00E399CD
	v_cmp_u_f32_e64 s[98:99], v144, v144                       // 00000001464C: D0480062 00032190
	v_add3_u32 v214, v144, v217, 1                             // 000000014654: D1FF00D6 0207B390
	v_cndmask_b32_e64 v204, v214, v216, s[98:99]               // 00000001465C: D10000CC 018BB1D6
	v_cmp_u_f32_e64 s[98:99], v145, v145                       // 000000014664: D0480062 00032391
	v_add3_u32 v214, v145, v217, 1                             // 00000001466C: D1FF00D6 0207B391
	v_cndmask_b32_e64 v205, v214, v216, s[98:99]               // 000000014674: D10000CD 018BB1D6
	v_perm_b32 v134, v205, v204, s56                           // 00000001467C: D1ED0086 00E399CD
	v_cmp_u_f32_e64 s[98:99], v146, v146                       // 000000014684: D0480062 00032592
	v_add3_u32 v214, v146, v217, 1                             // 00000001468C: D1FF00D6 0207B392
	v_cndmask_b32_e64 v204, v214, v216, s[98:99]               // 000000014694: D10000CC 018BB1D6
	v_cmp_u_f32_e64 s[98:99], v147, v147                       // 00000001469C: D0480062 00032793
	v_add3_u32 v214, v147, v217, 1                             // 0000000146A4: D1FF00D6 0207B393
	v_cndmask_b32_e64 v205, v214, v216, s[98:99]               // 0000000146AC: D10000CD 018BB1D6
	v_perm_b32 v135, v205, v204, s56                           // 0000000146B4: D1ED0087 00E399CD
	ds_write_b64 v247, v[124:125] offset:8192                  // 0000000146BC: D89A2000 00007CF7
	ds_write_b64 v247, v[126:127] offset:10496                 // 0000000146C4: D89A2900 00007EF7
	ds_write_b64 v247, v[128:129] offset:12800                 // 0000000146CC: D89A3200 000080F7
	ds_write_b64 v247, v[130:131] offset:15104                 // 0000000146D4: D89A3B00 000082F7
	ds_write_b64 v247, v[132:133] offset:17408                 // 0000000146DC: D89A4400 000084F7
	ds_write_b64 v247, v[134:135] offset:19712                 // 0000000146E4: D89A4D00 000086F7
	s_waitcnt lgkmcnt(0)                                       // 0000000146EC: BF8CC07F
	s_barrier                                                  // 0000000146F0: BF8A0000
	ds_read_b128 v[124:127], v248 offset:8192                  // 0000000146F4: D9FE2000 7C0000F8
	ds_read_b128 v[128:131], v248 offset:12800                 // 0000000146FC: D9FE3200 800000F8
	ds_read_b128 v[132:135], v248 offset:17408                 // 000000014704: D9FE4400 840000F8
	s_waitcnt lgkmcnt(2)                                       // 00000001470C: BF8CC27F
	buffer_store_dwordx4 v[124:127], v226, s[4:7], 0 offen     // 000000014710: E07C1000 80017CE2
	s_waitcnt lgkmcnt(1)                                       // 000000014718: BF8CC17F
	buffer_store_dwordx4 v[128:131], v227, s[4:7], 0 offen     // 00000001471C: E07C1000 800180E3
	s_waitcnt lgkmcnt(0)                                       // 000000014724: BF8CC07F
	buffer_store_dwordx4 v[132:135], v228, s[4:7], 0 offen     // 000000014728: E07C1000 800184E4
	s_branch label_47F9                                        // 000000014730: BF82002C

0000000000014734 <label_47CD>:
	v_rcp_f32_e32 v207, 0x3fb8aa3b                             // 000000014734: 7F9E44FF 3FB8AA3B
	v_log_f32_e32 v204, v176                                   // 00000001473C: 7F9843B0
	v_mul_f32_e64 v205, v164, s46                              // 000000014740: D10500CD 00005DA4
	v_add_f32_e32 v211, v204, v205                             // 000000014748: 03A79BCC
	v_mul_f32_e32 v211, v211, v207                             // 00000001474C: 0BA79FD3
	buffer_store_dword v211, v237, s[32:35], 0 offen           // 000000014750: E0701000 8008D3ED
	v_log_f32_e32 v204, v177                                   // 000000014758: 7F9843B1
	v_mul_f32_e64 v205, v165, s46                              // 00000001475C: D10500CD 00005DA5
	v_add_f32_e32 v212, v204, v205                             // 000000014764: 03A99BCC
	v_mul_f32_e32 v212, v212, v207                             // 000000014768: 0BA99FD4
	buffer_store_dword v212, v238, s[32:35], 0 offen           // 00000001476C: E0701000 8008D4EE
	v_log_f32_e32 v204, v178                                   // 000000014774: 7F9843B2
	v_mul_f32_e64 v205, v166, s46                              // 000000014778: D10500CD 00005DA6
	v_add_f32_e32 v213, v204, v205                             // 000000014780: 03AB9BCC
	v_mul_f32_e32 v213, v213, v207                             // 000000014784: 0BAB9FD5
	buffer_store_dword v213, v239, s[32:35], 0 offen           // 000000014788: E0701000 8008D5EF
	v_add_u32_e32 v204, 0, v240                                // 000000014790: 6999E080
	buffer_store_dwordx4 v[124:127], v204, s[28:31], 0 offen   // 000000014794: E07C1000 80077CCC
	v_add_u32_e32 v204, 0x100, v240                            // 00000001479C: 6999E0FF 00000100
	buffer_store_dwordx4 v[128:131], v204, s[28:31], 0 offen   // 0000000147A4: E07C1000 800780CC
	v_add_u32_e32 v204, 0, v241                                // 0000000147AC: 6999E280
	buffer_store_dwordx4 v[132:135], v204, s[28:31], 0 offen   // 0000000147B0: E07C1000 800784CC
	v_add_u32_e32 v204, 0x100, v241                            // 0000000147B8: 6999E2FF 00000100
	buffer_store_dwordx4 v[136:139], v204, s[28:31], 0 offen   // 0000000147C0: E07C1000 800788CC
	v_add_u32_e32 v204, 0, v242                                // 0000000147C8: 6999E480
	buffer_store_dwordx4 v[140:143], v204, s[28:31], 0 offen   // 0000000147CC: E07C1000 80078CCC
	v_add_u32_e32 v204, 0x100, v242                            // 0000000147D4: 6999E4FF 00000100
	buffer_store_dwordx4 v[144:147], v204, s[28:31], 0 offen   // 0000000147DC: E07C1000 800790CC

00000000000147e4 <label_47F9>:
	s_addk_i32 s80, 0x1                                        // 0000000147E4: B7500001
	s_branch label_0210                                        // 0000000147E8: BF82BA15

00000000000147ec <label_47FB>:
	s_waitcnt vmcnt(0) expcnt(0) lgkmcnt(0)                    // 0000000147EC: BF8C0000
	s_endpgm                                                   // 0000000147F0: BF810000
